;; amdgpu-corpus repo=ROCm/rocFFT kind=compiled arch=gfx950 opt=O3
	.text
	.amdgcn_target "amdgcn-amd-amdhsa--gfx950"
	.amdhsa_code_object_version 6
	.protected	fft_rtc_fwd_len1734_factors_17_17_6_wgs_102_tpt_102_halfLds_sp_op_CI_CI_unitstride_sbrr_dirReg ; -- Begin function fft_rtc_fwd_len1734_factors_17_17_6_wgs_102_tpt_102_halfLds_sp_op_CI_CI_unitstride_sbrr_dirReg
	.globl	fft_rtc_fwd_len1734_factors_17_17_6_wgs_102_tpt_102_halfLds_sp_op_CI_CI_unitstride_sbrr_dirReg
	.p2align	8
	.type	fft_rtc_fwd_len1734_factors_17_17_6_wgs_102_tpt_102_halfLds_sp_op_CI_CI_unitstride_sbrr_dirReg,@function
fft_rtc_fwd_len1734_factors_17_17_6_wgs_102_tpt_102_halfLds_sp_op_CI_CI_unitstride_sbrr_dirReg: ; @fft_rtc_fwd_len1734_factors_17_17_6_wgs_102_tpt_102_halfLds_sp_op_CI_CI_unitstride_sbrr_dirReg
; %bb.0:
	s_load_dwordx4 s[4:7], s[0:1], 0x58
	s_load_dwordx4 s[52:55], s[0:1], 0x0
	;; [unrolled: 1-line block ×3, first 2 shown]
                                        ; implicit-def: $vgpr155 : SGPR spill to VGPR lane
	v_mul_u32_u24_e32 v1, 0x283, v0
	v_add_u32_sdwa v6, s2, v1 dst_sel:DWORD dst_unused:UNUSED_PAD src0_sel:DWORD src1_sel:WORD_1
	v_mov_b32_e32 v2, 0
	s_waitcnt lgkmcnt(0)
	v_writelane_b32 v155, s4, 0
	v_cmp_lt_u64_e64 s[2:3], s[54:55], 2
	v_mov_b32_e32 v7, v2
	v_writelane_b32 v155, s5, 1
	v_writelane_b32 v155, s6, 2
	s_and_b64 vcc, exec, s[2:3]
	v_mov_b64_e32 v[4:5], 0
	v_writelane_b32 v155, s7, 3
	s_cbranch_vccnz .LBB0_8
; %bb.1:
	s_load_dwordx2 s[2:3], s[0:1], 0x10
	s_add_u32 s4, s14, 8
	s_addc_u32 s5, s15, 0
	s_add_u32 s6, s12, 8
	s_addc_u32 s7, s13, 0
	s_waitcnt lgkmcnt(0)
	s_add_u32 s8, s2, 8
	v_mov_b64_e32 v[4:5], 0
	s_addc_u32 s9, s3, 0
	s_mov_b64 s[10:11], 1
	v_mov_b64_e32 v[20:21], v[4:5]
.LBB0_2:                                ; =>This Inner Loop Header: Depth=1
	s_load_dwordx2 s[16:17], s[8:9], 0x0
                                        ; implicit-def: $vgpr22_vgpr23
	s_waitcnt lgkmcnt(0)
	v_or_b32_e32 v3, s17, v7
	v_cmp_ne_u64_e32 vcc, 0, v[2:3]
	s_and_saveexec_b64 s[2:3], vcc
	s_xor_b64 s[18:19], exec, s[2:3]
	s_cbranch_execz .LBB0_4
; %bb.3:                                ;   in Loop: Header=BB0_2 Depth=1
	v_cvt_f32_u32_e32 v1, s16
	v_cvt_f32_u32_e32 v3, s17
	s_sub_u32 s2, 0, s16
	s_subb_u32 s3, 0, s17
	v_fmac_f32_e32 v1, 0x4f800000, v3
	v_rcp_f32_e32 v1, v1
	s_nop 0
	v_mul_f32_e32 v1, 0x5f7ffffc, v1
	v_mul_f32_e32 v3, 0x2f800000, v1
	v_trunc_f32_e32 v3, v3
	v_fmac_f32_e32 v1, 0xcf800000, v3
	v_cvt_u32_f32_e32 v3, v3
	v_cvt_u32_f32_e32 v1, v1
	v_mul_lo_u32 v8, s2, v3
	v_mul_hi_u32 v10, s2, v1
	v_mul_lo_u32 v9, s3, v1
	v_add_u32_e32 v10, v10, v8
	v_mul_lo_u32 v12, s2, v1
	v_add_u32_e32 v13, v10, v9
	v_mul_hi_u32 v8, v1, v12
	v_mul_hi_u32 v11, v1, v13
	v_mul_lo_u32 v10, v1, v13
	v_mov_b32_e32 v9, v2
	v_lshl_add_u64 v[8:9], v[8:9], 0, v[10:11]
	v_mul_hi_u32 v11, v3, v12
	v_mul_lo_u32 v12, v3, v12
	v_add_co_u32_e32 v8, vcc, v8, v12
	v_mul_hi_u32 v10, v3, v13
	s_nop 0
	v_addc_co_u32_e32 v8, vcc, v9, v11, vcc
	v_mov_b32_e32 v9, v2
	s_nop 0
	v_addc_co_u32_e32 v11, vcc, 0, v10, vcc
	v_mul_lo_u32 v10, v3, v13
	v_lshl_add_u64 v[8:9], v[8:9], 0, v[10:11]
	v_add_co_u32_e32 v1, vcc, v1, v8
	v_mul_lo_u32 v10, s2, v1
	s_nop 0
	v_addc_co_u32_e32 v3, vcc, v3, v9, vcc
	v_mul_lo_u32 v8, s2, v3
	v_mul_hi_u32 v9, s2, v1
	v_add_u32_e32 v8, v9, v8
	v_mul_lo_u32 v9, s3, v1
	v_add_u32_e32 v12, v8, v9
	v_mul_hi_u32 v14, v3, v10
	v_mul_lo_u32 v15, v3, v10
	v_mul_hi_u32 v9, v1, v12
	v_mul_lo_u32 v8, v1, v12
	v_mul_hi_u32 v10, v1, v10
	v_mov_b32_e32 v11, v2
	v_lshl_add_u64 v[8:9], v[10:11], 0, v[8:9]
	v_add_co_u32_e32 v8, vcc, v8, v15
	v_mul_hi_u32 v13, v3, v12
	s_nop 0
	v_addc_co_u32_e32 v8, vcc, v9, v14, vcc
	v_mul_lo_u32 v10, v3, v12
	s_nop 0
	v_addc_co_u32_e32 v11, vcc, 0, v13, vcc
	v_mov_b32_e32 v9, v2
	v_lshl_add_u64 v[8:9], v[8:9], 0, v[10:11]
	v_add_co_u32_e32 v1, vcc, v1, v8
	v_mul_hi_u32 v10, v6, v1
	s_nop 0
	v_addc_co_u32_e32 v3, vcc, v3, v9, vcc
	v_mad_u64_u32 v[8:9], s[2:3], v6, v3, 0
	v_mov_b32_e32 v11, v2
	v_lshl_add_u64 v[8:9], v[10:11], 0, v[8:9]
	v_mad_u64_u32 v[12:13], s[2:3], v7, v1, 0
	v_add_co_u32_e32 v1, vcc, v8, v12
	v_mad_u64_u32 v[10:11], s[2:3], v7, v3, 0
	s_nop 0
	v_addc_co_u32_e32 v8, vcc, v9, v13, vcc
	v_mov_b32_e32 v9, v2
	s_nop 0
	v_addc_co_u32_e32 v11, vcc, 0, v11, vcc
	v_lshl_add_u64 v[8:9], v[8:9], 0, v[10:11]
	v_mul_lo_u32 v1, s17, v8
	v_mul_lo_u32 v3, s16, v9
	v_mad_u64_u32 v[10:11], s[2:3], s16, v8, 0
	v_add3_u32 v1, v11, v3, v1
	v_sub_u32_e32 v3, v7, v1
	v_mov_b32_e32 v11, s17
	v_sub_co_u32_e32 v14, vcc, v6, v10
	v_lshl_add_u64 v[12:13], v[8:9], 0, 1
	s_nop 0
	v_subb_co_u32_e64 v3, s[2:3], v3, v11, vcc
	v_subrev_co_u32_e64 v10, s[2:3], s16, v14
	v_subb_co_u32_e32 v1, vcc, v7, v1, vcc
	s_nop 0
	v_subbrev_co_u32_e64 v3, s[2:3], 0, v3, s[2:3]
	v_cmp_le_u32_e64 s[2:3], s17, v3
	v_cmp_le_u32_e32 vcc, s17, v1
	s_nop 0
	v_cndmask_b32_e64 v11, 0, -1, s[2:3]
	v_cmp_le_u32_e64 s[2:3], s16, v10
	s_nop 1
	v_cndmask_b32_e64 v10, 0, -1, s[2:3]
	v_cmp_eq_u32_e64 s[2:3], s17, v3
	s_nop 1
	v_cndmask_b32_e64 v3, v11, v10, s[2:3]
	v_lshl_add_u64 v[10:11], v[8:9], 0, 2
	v_cmp_ne_u32_e64 s[2:3], 0, v3
	s_nop 1
	v_cndmask_b32_e64 v3, v13, v11, s[2:3]
	v_cndmask_b32_e64 v11, 0, -1, vcc
	v_cmp_le_u32_e32 vcc, s16, v14
	s_nop 1
	v_cndmask_b32_e64 v13, 0, -1, vcc
	v_cmp_eq_u32_e32 vcc, s17, v1
	s_nop 1
	v_cndmask_b32_e32 v1, v11, v13, vcc
	v_cmp_ne_u32_e32 vcc, 0, v1
	v_cndmask_b32_e64 v1, v12, v10, s[2:3]
	s_nop 0
	v_cndmask_b32_e32 v23, v9, v3, vcc
	v_cndmask_b32_e32 v22, v8, v1, vcc
.LBB0_4:                                ;   in Loop: Header=BB0_2 Depth=1
	s_andn2_saveexec_b64 s[2:3], s[18:19]
	s_cbranch_execz .LBB0_6
; %bb.5:                                ;   in Loop: Header=BB0_2 Depth=1
	v_cvt_f32_u32_e32 v1, s16
	s_sub_i32 s18, 0, s16
	v_mov_b32_e32 v23, v2
	v_rcp_iflag_f32_e32 v1, v1
	s_nop 0
	v_mul_f32_e32 v1, 0x4f7ffffe, v1
	v_cvt_u32_f32_e32 v1, v1
	v_mul_lo_u32 v3, s18, v1
	v_mul_hi_u32 v3, v1, v3
	v_add_u32_e32 v1, v1, v3
	v_mul_hi_u32 v1, v6, v1
	v_mul_lo_u32 v3, v1, s16
	v_sub_u32_e32 v3, v6, v3
	v_add_u32_e32 v8, 1, v1
	v_subrev_u32_e32 v9, s16, v3
	v_cmp_le_u32_e32 vcc, s16, v3
	s_nop 1
	v_cndmask_b32_e32 v3, v3, v9, vcc
	v_cndmask_b32_e32 v1, v1, v8, vcc
	v_add_u32_e32 v8, 1, v1
	v_cmp_le_u32_e32 vcc, s16, v3
	s_nop 1
	v_cndmask_b32_e32 v22, v1, v8, vcc
.LBB0_6:                                ;   in Loop: Header=BB0_2 Depth=1
	s_or_b64 exec, exec, s[2:3]
	v_mad_u64_u32 v[8:9], s[2:3], v22, s16, 0
	s_load_dwordx2 s[2:3], s[6:7], 0x0
	v_mul_lo_u32 v1, v23, s16
	v_mul_lo_u32 v3, v22, s17
	s_load_dwordx2 s[16:17], s[4:5], 0x0
	s_add_u32 s10, s10, 1
	v_add3_u32 v1, v9, v3, v1
	v_sub_co_u32_e32 v3, vcc, v6, v8
	s_addc_u32 s11, s11, 0
	s_nop 0
	v_subb_co_u32_e32 v1, vcc, v7, v1, vcc
	s_add_u32 s4, s4, 8
	s_waitcnt lgkmcnt(0)
	v_mul_lo_u32 v6, s2, v1
	v_mul_lo_u32 v7, s3, v3
	v_mad_u64_u32 v[4:5], s[2:3], s2, v3, v[4:5]
	s_addc_u32 s5, s5, 0
	v_add3_u32 v5, v7, v5, v6
	v_mul_lo_u32 v1, s16, v1
	v_mul_lo_u32 v6, s17, v3
	v_mad_u64_u32 v[20:21], s[2:3], s16, v3, v[20:21]
	s_add_u32 s6, s6, 8
	v_add3_u32 v21, v6, v21, v1
	s_addc_u32 s7, s7, 0
	v_mov_b64_e32 v[6:7], s[54:55]
	s_add_u32 s8, s8, 8
	v_cmp_ge_u64_e32 vcc, s[10:11], v[6:7]
	s_addc_u32 s9, s9, 0
	s_cbranch_vccnz .LBB0_9
; %bb.7:                                ;   in Loop: Header=BB0_2 Depth=1
	v_mov_b64_e32 v[6:7], v[22:23]
	s_branch .LBB0_2
.LBB0_8:
	v_mov_b64_e32 v[20:21], v[4:5]
	v_mov_b64_e32 v[22:23], v[6:7]
.LBB0_9:
	s_load_dwordx2 s[0:1], s[0:1], 0x28
	s_lshl_b64 s[6:7], s[54:55], 3
	s_add_u32 s2, s14, s6
	s_addc_u32 s3, s15, s7
                                        ; implicit-def: $sgpr8_sgpr9
                                        ; implicit-def: $vgpr146
	s_waitcnt lgkmcnt(0)
	v_cmp_gt_u64_e64 s[4:5], s[0:1], v[22:23]
	v_cmp_le_u64_e64 s[0:1], s[0:1], v[22:23]
	s_nop 0
	v_writelane_b32 v155, s4, 4
	s_nop 1
	v_writelane_b32 v155, s5, 5
	s_and_saveexec_b64 s[4:5], s[0:1]
	s_xor_b64 s[0:1], exec, s[4:5]
; %bb.10:
	s_mov_b32 s4, 0x2828283
	v_mul_hi_u32 v1, v0, s4
	v_mul_u32_u24_e32 v1, 0x66, v1
	v_sub_u32_e32 v146, v0, v1
	s_mov_b64 s[8:9], 0
                                        ; implicit-def: $vgpr0
                                        ; implicit-def: $vgpr4_vgpr5
; %bb.11:
	s_or_saveexec_b64 s[4:5], s[0:1]
	v_mov_b64_e32 v[2:3], s[8:9]
                                        ; implicit-def: $vgpr76
                                        ; implicit-def: $vgpr12
                                        ; implicit-def: $vgpr6
                                        ; implicit-def: $vgpr8
                                        ; implicit-def: $vgpr10
                                        ; implicit-def: $vgpr80
                                        ; implicit-def: $vgpr78
                                        ; implicit-def: $vgpr82
                                        ; implicit-def: $vgpr64
                                        ; implicit-def: $vgpr62
                                        ; implicit-def: $vgpr66
                                        ; implicit-def: $vgpr68
                                        ; implicit-def: $vgpr70
                                        ; implicit-def: $vgpr72
                                        ; implicit-def: $vgpr74
                                        ; implicit-def: $vgpr84
	s_xor_b64 exec, exec, s[4:5]
	s_cbranch_execz .LBB0_13
; %bb.12:
	s_add_u32 s0, s12, s6
	s_addc_u32 s1, s13, s7
	s_load_dwordx2 s[0:1], s[0:1], 0x0
	s_mov_b32 s6, 0x2828283
	v_readlane_b32 s8, v155, 0
	v_readlane_b32 s9, v155, 1
	v_readlane_b32 s10, v155, 2
	s_waitcnt lgkmcnt(0)
	v_mul_lo_u32 v1, s1, v22
	v_mul_lo_u32 v6, s0, v23
	v_mad_u64_u32 v[2:3], s[0:1], s0, v22, 0
	v_add3_u32 v3, v3, v6, v1
	v_mul_hi_u32 v1, v0, s6
	v_mul_u32_u24_e32 v1, 0x66, v1
	v_sub_u32_e32 v146, v0, v1
	v_lshl_add_u64 v[0:1], v[2:3], 3, s[8:9]
	v_lshl_add_u64 v[0:1], v[4:5], 3, v[0:1]
	v_lshlrev_b32_e32 v2, 3, v146
	v_mov_b32_e32 v3, 0
	v_lshl_add_u64 v[0:1], v[0:1], 0, v[2:3]
	s_movk_i32 s0, 0x1000
	v_add_co_u32_e64 v4, s[0:1], s0, v0
	global_load_dwordx2 v[2:3], v[0:1], off
	global_load_dwordx2 v[76:77], v[0:1], off offset:816
	global_load_dwordx2 v[12:13], v[0:1], off offset:1632
	;; [unrolled: 1-line block ×3, first 2 shown]
	v_addc_co_u32_e64 v5, s[0:1], 0, v1, s[0:1]
	s_movk_i32 s0, 0x2000
	s_nop 0
	v_add_co_u32_e64 v14, s[0:1], s0, v0
	global_load_dwordx2 v[8:9], v[0:1], off offset:3264
	global_load_dwordx2 v[10:11], v[0:1], off offset:4080
	;; [unrolled: 1-line block ×4, first 2 shown]
	v_addc_co_u32_e64 v15, s[0:1], 0, v1, s[0:1]
	global_load_dwordx2 v[82:83], v[4:5], off offset:2432
	global_load_dwordx2 v[84:85], v[4:5], off offset:3248
	;; [unrolled: 1-line block ×8, first 2 shown]
	s_movk_i32 s0, 0x3000
	v_add_co_u32_e64 v0, s[0:1], s0, v0
	v_readlane_b32 s11, v155, 3
	s_nop 0
	v_addc_co_u32_e64 v1, s[0:1], 0, v1, s[0:1]
	global_load_dwordx2 v[64:65], v[0:1], off offset:768
.LBB0_13:
	s_or_b64 exec, exec, s[4:5]
	s_waitcnt vmcnt(15)
	v_add_f32_e32 v0, v76, v2
	v_add_f32_e32 v1, v77, v3
	s_waitcnt vmcnt(14)
	v_add_f32_e32 v0, v12, v0
	v_add_f32_e32 v1, v13, v1
	;; [unrolled: 3-line block ×5, first 2 shown]
	s_waitcnt vmcnt(1)
	v_pk_add_f32 v[0:1], v[12:13], v[62:63]
	v_pk_add_f32 v[56:57], v[12:13], v[62:63] neg_lo:[0,1] neg_hi:[0,1]
	s_mov_b32 s54, 0x3f3d2fb0
	v_mov_b32_e32 v4, v0
	v_mov_b32_e32 v5, v57
	s_mov_b32 s55, 0xbf2c7751
	v_pk_mul_f32 v[12:13], v[4:5], s[54:55]
	v_pk_add_f32 v[58:59], v[6:7], v[66:67] neg_lo:[0,1] neg_hi:[0,1]
	v_mov_b32_e32 v15, v12
	v_pk_fma_f32 v[118:119], v[4:5], s[54:55], v[14:15] neg_lo:[1,0,0] neg_hi:[1,0,0]
	v_mov_b32_e32 v4, v1
	v_mov_b32_e32 v5, v56
	v_pk_mul_f32 v[14:15], v[4:5], s[54:55]
	s_mov_b32 s10, 0x3ee437d1
	v_mov_b32_e32 v17, v14
	v_pk_fma_f32 v[86:87], v[4:5], s[54:55], v[16:17]
	v_pk_add_f32 v[4:5], v[6:7], v[66:67]
	v_mov_b32_e32 v7, v59
	v_mov_b32_e32 v6, v4
	s_mov_b32 s11, 0xbf65296c
	v_add_f32_e32 v27, v13, v12
	v_pk_mul_f32 v[12:13], v[6:7], s[10:11]
	v_sub_f32_e32 v148, v14, v15
	v_mov_b32_e32 v15, v12
	v_pk_fma_f32 v[120:121], v[6:7], s[10:11], v[14:15] neg_lo:[1,0,0] neg_hi:[1,0,0]
	v_mov_b32_e32 v6, v5
	v_mov_b32_e32 v7, v58
	v_pk_mul_f32 v[14:15], v[6:7], s[10:11]
	v_pk_add_f32 v[60:61], v[8:9], v[68:69] neg_lo:[0,1] neg_hi:[0,1]
	v_mov_b32_e32 v17, v14
	v_pk_fma_f32 v[92:93], v[6:7], s[10:11], v[16:17]
	v_pk_add_f32 v[6:7], v[8:9], v[68:69]
	s_mov_b32 s30, 0x3dbcf732
	v_mov_b32_e32 v8, v6
	v_mov_b32_e32 v9, v61
	s_mov_b32 s31, 0xbf7ee86f
	v_add_f32_e32 v29, v13, v12
	v_pk_mul_f32 v[12:13], v[8:9], s[30:31]
	v_sub_f32_e32 v149, v14, v15
	v_mov_b32_e32 v15, v12
	v_pk_fma_f32 v[122:123], v[8:9], s[30:31], v[14:15] neg_lo:[1,0,0] neg_hi:[1,0,0]
	v_mov_b32_e32 v8, v7
	v_mov_b32_e32 v9, v60
	s_mov_b32 s4, 0x3f2c7751
	v_pk_mul_f32 v[14:15], v[8:9], s[30:31]
	s_mov_b32 s5, 0xbf06c442
	v_mov_b32_e32 v17, v14
	v_add_f32_e32 v31, v13, v12
	v_mov_b32_e32 v12, v60
	v_mov_b32_e32 v13, v58
	s_mov_b32 s19, 0xbf59a7d5
	v_pk_fma_f32 v[94:95], v[8:9], s[30:31], v[16:17]
	v_mov_b32_e32 v9, v5
	s_mov_b32 s18, s54
	v_pk_mul_f32 v[12:13], v[12:13], s[4:5]
	v_pk_add_f32 v[48:49], v[10:11], v[70:71] neg_lo:[0,1] neg_hi:[0,1]
	v_pk_fma_f32 v[96:97], v[8:9], s[18:19], v[12:13]
	v_pk_fma_f32 v[98:99], v[8:9], s[18:19], v[12:13] neg_lo:[0,0,1] neg_hi:[0,0,1]
	v_pk_add_f32 v[8:9], v[10:11], v[70:71]
	s_mov_b32 s62, 0xbe8c1d8e
	v_mov_b32_e32 v10, v8
	v_mov_b32_e32 v11, v49
	s_mov_b32 s63, 0xbf763a35
	v_pk_mul_f32 v[12:13], v[10:11], s[62:63]
	v_sub_f32_e32 v150, v14, v15
	v_mov_b32_e32 v15, v12
	v_pk_fma_f32 v[124:125], v[10:11], s[62:63], v[14:15] neg_lo:[1,0,0] neg_hi:[1,0,0]
	v_mov_b32_e32 v10, v9
	v_mov_b32_e32 v11, v48
	v_pk_mul_f32 v[14:15], v[10:11], s[62:63]
	s_mov_b32 s46, 0xbf1a4643
	v_mov_b32_e32 v17, v14
	v_pk_fma_f32 v[100:101], v[10:11], s[62:63], v[16:17]
	v_pk_add_f32 v[10:11], v[80:81], v[72:73]
	v_pk_add_f32 v[50:51], v[80:81], v[72:73] neg_lo:[0,1] neg_hi:[0,1]
	v_add_f32_e32 v33, v13, v12
	s_mov_b32 s47, 0xbf4c4adb
	v_mov_b32_e32 v12, v10
	v_mov_b32_e32 v13, v51
	v_sub_f32_e32 v151, v14, v15
	v_pk_mul_f32 v[14:15], v[12:13], s[46:47]
	s_mov_b32 s26, 0x3f65296c
	v_mov_b32_e32 v17, v14
	v_pk_fma_f32 v[126:127], v[12:13], s[46:47], v[16:17] neg_lo:[1,0,0] neg_hi:[1,0,0]
	v_mov_b32_e32 v12, v11
	v_mov_b32_e32 v13, v50
	v_pk_mul_f32 v[16:17], v[12:13], s[46:47]
	v_add_f32_e32 v35, v15, v14
	v_mov_b32_e32 v19, v16
	v_mov_b32_e32 v14, v50
	;; [unrolled: 1-line block ×3, first 2 shown]
	s_mov_b32 s27, s47
	v_pk_fma_f32 v[102:103], v[12:13], s[46:47], v[18:19]
	v_mov_b32_e32 v13, v9
	s_mov_b32 s0, s10
	s_mov_b32 s1, s46
	v_pk_mul_f32 v[14:15], v[14:15], s[26:27]
	v_writelane_b32 v155, s0, 6
	v_pk_add_f32 v[52:53], v[78:79], v[74:75] neg_lo:[0,1] neg_hi:[0,1]
	v_sub_f32_e32 v152, v16, v17
	v_pk_fma_f32 v[104:105], v[12:13], s[0:1], v[14:15]
	v_pk_fma_f32 v[106:107], v[12:13], s[0:1], v[14:15] neg_lo:[0,0,1] neg_hi:[0,0,1]
	v_pk_add_f32 v[12:13], v[78:79], v[74:75]
	v_writelane_b32 v155, s1, 7
	v_mov_b32_e32 v14, v12
	v_mov_b32_e32 v15, v53
	s_mov_b32 s0, s19
	s_mov_b32 s1, s5
	v_pk_mul_f32 v[16:17], v[14:15], s[0:1]
	s_waitcnt vmcnt(0)
	v_pk_add_f32 v[54:55], v[76:77], v[64:65] neg_lo:[0,1] neg_hi:[0,1]
	v_mov_b32_e32 v19, v16
	v_pk_fma_f32 v[128:129], v[14:15], s[0:1], v[18:19] neg_lo:[1,0,0] neg_hi:[1,0,0]
	v_mov_b32_e32 v14, v13
	v_mov_b32_e32 v15, v52
	v_pk_mul_f32 v[18:19], v[14:15], s[0:1]
	v_add_f32_e32 v37, v17, v16
	v_pk_mul_f32 v[16:17], v[14:15], s[62:63]
	v_mul_f32_e32 v24, 0xbe3c28d5, v55
	v_mov_b32_e32 v25, v18
	v_sub_f32_e32 v153, v18, v19
	v_mov_b32_e32 v18, v17
	v_mov_b32_e32 v17, v16
	s_mov_b32 s16, 0xbf7ba420
	v_pk_fma_f32 v[108:109], v[14:15], s[0:1], v[24:25]
	v_pk_fma_f32 v[18:19], v[14:15], s[62:63], v[18:19]
	v_pk_fma_f32 v[16:17], v[14:15], s[62:63], v[16:17] neg_lo:[1,0,0] neg_hi:[1,0,0]
	v_pk_add_f32 v[14:15], v[82:83], v[84:85]
	v_pk_add_f32 v[40:41], v[82:83], v[84:85] neg_lo:[0,1] neg_hi:[0,1]
	s_mov_b32 s17, 0xbe3c28d5
	v_mov_b32_e32 v110, v14
	v_mov_b32_e32 v111, v41
	v_pk_mul_f32 v[114:115], v[110:111], s[16:17]
	v_mov_b32_e32 v113, v64
	v_mov_b32_e32 v25, v114
	v_pk_fma_f32 v[130:131], v[110:111], s[16:17], v[24:25] neg_lo:[1,0,0] neg_hi:[1,0,0]
	v_mov_b32_e32 v110, v15
	v_mov_b32_e32 v111, v40
	v_pk_mul_f32 v[132:133], v[110:111], s[16:17]
	v_mul_f32_e32 v117, 0xbeb8f4ab, v55
	v_mov_b32_e32 v25, v132
	v_pk_fma_f32 v[110:111], v[110:111], s[16:17], v[24:25]
	v_add_f32_e32 v25, v115, v114
	v_mov_b32_e32 v114, v80
	v_mov_b32_e32 v115, v76
	v_pk_add_f32 v[114:115], v[114:115], v[112:113]
	v_sub_f32_e32 v154, v132, v133
	v_mov_b32_e32 v113, 0x3f6eb680
	v_mov_b32_e32 v112, v78
	v_pk_add_f32 v[132:133], v[78:79], v[114:115]
	v_mov_b32_e32 v116, v82
	v_pk_add_f32 v[132:133], v[132:133], v[82:83]
	v_pk_fma_f32 v[116:117], v[112:113], v[114:115], v[116:117] neg_lo:[0,0,1] neg_hi:[0,0,1]
	v_mov_b32_e32 v118, v74
	v_mov_b32_e32 v133, v117
	;; [unrolled: 1-line block ×4, first 2 shown]
	v_pk_add_f32 v[116:117], v[116:117], v[132:133]
	v_mov_b32_e32 v120, v72
	v_pk_add_f32 v[116:117], v[118:119], v[116:117]
	v_mov_b32_e32 v122, v70
	;; [unrolled: 2-line block ×5, first 2 shown]
	v_pk_add_f32 v[116:117], v[126:127], v[116:117]
	s_movk_i32 s0, 0x44
	v_pk_add_f32 v[116:117], v[128:129], v[116:117]
	v_mov_b32_e32 v130, v64
	s_mov_b32 s36, s54
	s_mov_b32 s37, s10
	s_load_dwordx2 vcc, s[2:3], 0x0
	v_mad_u32_u24 v147, v146, s0, 0
	v_pk_add_f32 v[116:117], v[130:131], v[116:117]
	s_mov_b32 s2, s55
	s_mov_b32 s3, s11
	;; [unrolled: 1-line block ×4, first 2 shown]
	v_pk_mul_f32 v[130:131], v[114:115], s[36:37] op_sel:[1,0]
	v_pk_mul_f32 v[134:135], v[112:113], v[114:115]
	ds_write2_b32 v147, v116, v117 offset1:1
	v_writelane_b32 v155, s0, 8
	s_mov_b32 s98, s31
	s_mov_b32 s99, s47
	v_pk_mul_f32 v[116:117], v[0:1], s[0:1] op_sel_hi:[0,1]
	s_mov_b32 s42, s46
	s_mov_b32 s43, s16
	v_pk_fma_f32 v[156:157], v[54:55], s[2:3], v[130:131] op_sel:[1,0,0] neg_lo:[1,0,0] neg_hi:[1,0,0]
	v_fmac_f32_e32 v135, 0xbeb8f4ab, v55
	v_pk_fma_f32 v[132:133], v[56:57], s[98:99], v[116:117] op_sel:[1,0,0] neg_lo:[1,0,0] neg_hi:[1,0,0]
	v_pk_mul_f32 v[118:119], v[4:5], s[42:43] op_sel_hi:[0,1]
	s_mov_b32 s59, 0x3e3c28d5
	s_mov_b32 s58, s47
	;; [unrolled: 1-line block ×4, first 2 shown]
	v_pk_add_f32 v[156:157], v[156:157], v[2:3] op_sel_hi:[1,0]
	v_add_f32_e32 v39, v135, v2
	v_writelane_b32 v155, s1, 9
	v_pk_fma_f32 v[134:135], v[58:59], s[58:59], v[118:119] op_sel:[1,0,0] neg_lo:[1,0,0] neg_hi:[1,0,0]
	v_pk_mul_f32 v[120:121], v[6:7], s[48:49] op_sel_hi:[0,1]
	s_mov_b32 s51, 0x3f763a35
	s_mov_b32 s50, s17
	;; [unrolled: 1-line block ×4, first 2 shown]
	v_pk_add_f32 v[132:133], v[132:133], v[156:157]
	s_mov_b32 s9, 0x3f6eb680
	v_pk_fma_f32 v[136:137], v[60:61], s[50:51], v[120:121] op_sel:[1,0,0] neg_lo:[1,0,0] neg_hi:[1,0,0]
	v_writelane_b32 v155, s0, 10
	s_mov_b32 s56, 0x3f06c442
	s_mov_b32 s57, s4
	v_pk_mul_f32 v[122:123], v[8:9], s[0:1] op_sel_hi:[0,1]
	s_mov_b32 s8, s62
	v_pk_add_f32 v[132:133], v[134:135], v[132:133]
	s_mov_b32 s23, 0xbeb8f4ab
	v_pk_fma_f32 v[138:139], v[48:49], s[56:57], v[122:123] op_sel:[1,0,0] neg_lo:[1,0,0] neg_hi:[1,0,0]
	v_pk_mul_f32 v[124:125], v[10:11], s[8:9] op_sel_hi:[0,1]
	s_mov_b32 s22, s51
	s_mov_b32 s34, s10
	s_mov_b32 s35, s30
	v_pk_add_f32 v[132:133], v[136:137], v[132:133]
	v_pk_fma_f32 v[140:141], v[50:51], s[22:23], v[124:125] op_sel:[1,0,0] neg_lo:[1,0,0] neg_hi:[1,0,0]
	v_pk_mul_f32 v[126:127], v[12:13], s[34:35] op_sel_hi:[0,1]
	s_mov_b32 s27, s31
	s_mov_b32 s18, s9
	v_pk_add_f32 v[132:133], v[138:139], v[132:133]
	v_writelane_b32 v155, s1, 11
	v_pk_fma_f32 v[142:143], v[52:53], s[26:27], v[126:127] op_sel:[1,0,0] neg_lo:[1,0,0] neg_hi:[1,0,0]
	v_pk_mul_f32 v[128:129], v[14:15], s[18:19] op_sel_hi:[0,1]
	s_mov_b32 s0, 0x3eb8f4ab
	s_mov_b32 s1, s5
	v_pk_add_f32 v[132:133], v[140:141], v[132:133]
	v_pk_fma_f32 v[144:145], v[40:41], s[0:1], v[128:129] op_sel:[1,0,0] neg_lo:[1,0,0] neg_hi:[1,0,0]
	v_pk_add_f32 v[132:133], v[142:143], v[132:133]
	s_mov_b32 s4, s16
	s_mov_b32 s5, s19
	v_pk_add_f32 v[132:133], v[144:145], v[132:133]
	v_writelane_b32 v155, s4, 12
	ds_write2_b32 v147, v132, v133 offset0:2 offset1:3
	s_mov_b32 s12, s9
	v_writelane_b32 v155, s5, 13
	v_pk_mul_f32 v[132:133], v[0:1], s[4:5] op_sel_hi:[0,1]
	s_mov_b32 s4, s62
	s_mov_b32 s5, s54
	v_writelane_b32 v155, s4, 14
	s_mov_b32 s13, s10
	s_mov_b32 s20, s31
	v_writelane_b32 v155, s5, 15
	v_writelane_b32 v155, s12, 16
	s_mov_b32 s21, s63
	s_mov_b32 s40, s17
	v_writelane_b32 v155, s13, 17
	v_pk_mul_f32 v[136:137], v[6:7], s[12:13] op_sel_hi:[0,1]
	s_mov_b32 s12, s19
	s_mov_b32 s13, s30
	v_writelane_b32 v155, s12, 18
	s_mov_b32 s41, s56
	s_mov_b32 s6, 0x3f2c7751
	v_writelane_b32 v155, s13, 19
	v_pk_mul_f32 v[140:141], v[10:11], s[12:13] op_sel_hi:[0,1]
	s_mov_b32 s12, s30
	s_mov_b32 s13, s62
	v_pk_mul_f32 v[170:171], v[114:115], s[12:13] op_sel:[1,0]
	v_pk_fma_f32 v[156:157], v[56:57], s[40:41], v[132:133] op_sel:[1,0,0] neg_lo:[1,0,0] neg_hi:[1,0,0]
	v_pk_fma_f32 v[172:173], v[54:55], s[20:21], v[170:171] op_sel:[1,0,0] neg_lo:[1,0,0] neg_hi:[1,0,0]
	v_pk_mul_f32 v[134:135], v[4:5], s[4:5] op_sel_hi:[0,1]
	s_mov_b32 s4, s51
	s_mov_b32 s7, 0xbf06c442
	;; [unrolled: 1-line block ×3, first 2 shown]
	v_pk_add_f32 v[172:173], v[172:173], v[2:3] op_sel_hi:[1,0]
	v_pk_fma_f32 v[158:159], v[58:59], s[4:5], v[134:135] op_sel:[1,0,0] neg_lo:[1,0,0] neg_hi:[1,0,0]
	s_mov_b32 s38, s0
	s_mov_b32 s39, s11
	;; [unrolled: 1-line block ×4, first 2 shown]
	v_pk_add_f32 v[156:157], v[156:157], v[172:173]
	s_mov_b64 s[44:45], s[0:1]
	v_pk_fma_f32 v[160:161], v[60:61], s[38:39], v[136:137] op_sel:[1,0,0] neg_lo:[1,0,0] neg_hi:[1,0,0]
	v_pk_mul_f32 v[138:139], v[8:9], s[66:67] op_sel_hi:[0,1]
	s_mov_b32 s0, s11
	s_mov_b32 s1, s17
	;; [unrolled: 1-line block ×5, first 2 shown]
	v_pk_add_f32 v[156:157], v[158:159], v[156:157]
	v_pk_fma_f32 v[162:163], v[48:49], s[0:1], v[138:139] op_sel:[1,0,0] neg_lo:[1,0,0] neg_hi:[1,0,0]
	s_mov_b32 s83, 0x3f7ee86f
	s_mov_b32 s28, 0x3f2c7751
	v_writelane_b32 v155, s6, 20
	v_pk_add_f32 v[156:157], v[160:161], v[156:157]
	s_mov_b32 s29, 0xbf06c442
	v_pk_fma_f32 v[164:165], v[50:51], s[82:83], v[140:141] op_sel:[1,0,0] neg_lo:[1,0,0] neg_hi:[1,0,0]
	v_writelane_b32 v155, s7, 21
	v_pk_mul_f32 v[142:143], v[12:13], s[6:7] op_sel_hi:[0,1]
	s_mov_b32 s72, 0x3f4c4adb
	s_mov_b32 s73, s23
	;; [unrolled: 1-line block ×4, first 2 shown]
	v_pk_add_f32 v[156:157], v[162:163], v[156:157]
	s_mov_b32 s6, 0x3f2c7751
	v_pk_fma_f32 v[166:167], v[52:53], s[72:73], v[142:143] op_sel:[1,0,0] neg_lo:[1,0,0] neg_hi:[1,0,0]
	v_pk_mul_f32 v[144:145], v[14:15], s[70:71] op_sel_hi:[0,1]
	s_mov_b32 s29, s47
	v_pk_add_f32 v[156:157], v[164:165], v[156:157]
	s_mov_b32 s7, 0xbf06c442
	v_pk_fma_f32 v[168:169], v[40:41], s[28:29], v[144:145] op_sel:[1,0,0] neg_lo:[1,0,0] neg_hi:[1,0,0]
	v_pk_add_f32 v[156:157], v[166:167], v[156:157]
	s_mov_b32 s61, s7
	s_mov_b32 s96, s7
	;; [unrolled: 1-line block ×5, first 2 shown]
	v_mul_f32_e32 v76, 0xbf7ba420, v115
	v_pk_add_f32 v[156:157], v[168:169], v[156:157]
	s_mov_b32 s60, s47
	s_mov_b32 s74, s62
	;; [unrolled: 1-line block ×3, first 2 shown]
	v_pk_mul_f32 v[114:115], v[114:115], s[6:7] op_sel:[1,0]
	ds_write2_b32 v147, v156, v157 offset0:4 offset1:5
	v_pk_mul_f32 v[156:157], v[0:1], s[74:75] op_sel_hi:[0,1]
	s_mov_b32 s64, s51
	s_mov_b32 s65, s26
	;; [unrolled: 1-line block ×4, first 2 shown]
	v_pk_fma_f32 v[186:187], v[54:55], s[60:61], v[114:115] op_sel:[1,0,0] neg_lo:[1,0,0] neg_hi:[1,0,0]
	v_pk_fma_f32 v[158:159], v[56:57], s[64:65], v[156:157] op_sel:[1,0,0] neg_lo:[1,0,0] neg_hi:[1,0,0]
	v_pk_mul_f32 v[160:161], v[4:5], s[76:77] op_sel_hi:[0,1]
	s_mov_b32 s14, s23
	s_mov_b32 s15, s31
	;; [unrolled: 1-line block ×4, first 2 shown]
	v_pk_add_f32 v[186:187], v[186:187], v[2:3] op_sel_hi:[1,0]
	v_pk_fma_f32 v[162:163], v[58:59], s[14:15], v[160:161] op_sel:[1,0,0] neg_lo:[1,0,0] neg_hi:[1,0,0]
	v_pk_mul_f32 v[164:165], v[6:7], s[78:79] op_sel_hi:[0,1]
	s_mov_b32 s97, s72
	s_mov_b32 s80, s30
	s_mov_b32 s81, s9
	v_pk_add_f32 v[158:159], v[158:159], v[186:187]
	v_add_f32_e32 v27, v27, v39
	v_pk_fma_f32 v[166:167], v[60:61], s[96:97], v[164:165] op_sel:[1,0,0] neg_lo:[1,0,0] neg_hi:[1,0,0]
	v_pk_mul_f32 v[168:169], v[8:9], s[80:81] op_sel_hi:[0,1]
	s_mov_b32 s94, s83
	s_mov_b32 s95, s23
	s_mov_b32 s24, s54
	s_mov_b32 s25, s16
	v_pk_add_f32 v[158:159], v[162:163], v[158:159]
	v_add_f32_e32 v27, v29, v27
	v_pk_fma_f32 v[172:173], v[48:49], s[94:95], v[168:169] op_sel:[1,0,0] neg_lo:[1,0,0] neg_hi:[1,0,0]
	v_pk_mul_f32 v[174:175], v[10:11], s[24:25] op_sel_hi:[0,1]
	s_mov_b32 s92, s55
	;; [unrolled: 8-line block ×3, first 2 shown]
	s_mov_b32 s86, s10
	s_mov_b32 s87, s62
	v_pk_add_f32 v[158:159], v[172:173], v[158:159]
	v_add_f32_e32 v27, v33, v27
	v_pk_fma_f32 v[180:181], v[52:53], s[90:91], v[178:179] op_sel:[1,0,0] neg_lo:[1,0,0] neg_hi:[1,0,0]
	v_pk_mul_f32 v[182:183], v[14:15], s[86:87] op_sel_hi:[0,1]
	s_mov_b32 s88, s26
	s_mov_b32 s89, s63
	v_pk_add_f32 v[158:159], v[176:177], v[158:159]
	v_add_f32_e32 v27, v35, v27
	v_pk_fma_f32 v[184:185], v[40:41], s[88:89], v[182:183] op_sel:[1,0,0] neg_lo:[1,0,0] neg_hi:[1,0,0]
	v_pk_add_f32 v[158:159], v[180:181], v[158:159]
	v_mul_f32_e32 v26, 0x3f6eb680, v0
	v_mul_f32_e32 v28, 0x3eb8f4ab, v57
	v_add_f32_e32 v27, v37, v27
	v_pk_add_f32 v[158:159], v[184:185], v[158:159]
	v_mul_f32_e32 v30, 0xbf59a7d5, v4
	v_mul_f32_e32 v32, 0xbf06c442, v59
	v_add_f32_e32 v25, v25, v27
	ds_write2_b32 v147, v158, v159 offset0:6 offset1:7
	v_pk_add_f32 v[158:159], v[26:27], v[28:29] neg_lo:[0,1] neg_hi:[0,1]
	v_pk_add_f32 v[26:27], v[26:27], v[28:29]
	v_mul_f32_e32 v34, 0x3f3d2fb0, v6
	v_mul_f32_e32 v36, 0x3f2c7751, v61
	v_mov_b32_e32 v159, v26
	v_pk_add_f32 v[26:27], v[30:31], v[32:33] neg_lo:[0,1] neg_hi:[0,1]
	v_pk_add_f32 v[28:29], v[30:31], v[32:33]
	v_mul_f32_e32 v38, 0xbf1a4643, v8
	v_mul_f32_e32 v42, 0xbf4c4adb, v49
	v_mul_f32_e32 v43, 0x3f7ee86f, v40
	v_mov_b32_e32 v27, v28
	v_pk_add_f32 v[28:29], v[34:35], v[36:37] neg_lo:[0,1] neg_hi:[0,1]
	v_pk_add_f32 v[30:31], v[34:35], v[36:37]
	v_mul_f32_e32 v44, 0x3ee437d1, v10
	;; [unrolled: 6-line block ×4, first 2 shown]
	v_mul_f32_e32 v92, 0x3f7ee86f, v41
	v_mov_b32_e32 v33, v34
	v_pk_add_f32 v[34:35], v[86:87], v[88:89] neg_lo:[0,1] neg_hi:[0,1]
	v_pk_add_f32 v[36:37], v[86:87], v[88:89]
	v_pk_add_f32 v[38:39], v[16:17], v[92:93]
	v_mov_b32_e32 v35, v36
	v_pk_add_f32 v[36:37], v[16:17], v[92:93] neg_lo:[0,1] neg_hi:[0,1]
	v_pk_add_f32 v[46:47], v[76:77], v[24:25]
	v_mov_b32_e32 v37, v38
	v_pk_add_f32 v[38:39], v[76:77], v[24:25] neg_lo:[0,1] neg_hi:[0,1]
	v_mov_b32_e32 v76, v81
	v_mov_b32_e32 v39, v46
	v_pk_add_f32 v[38:39], v[38:39], v[2:3] op_sel_hi:[1,0]
	v_pk_fma_f32 v[46:47], v[54:55], s[60:61], v[114:115] op_sel:[1,0,0]
	v_pk_add_f32 v[38:39], v[158:159], v[38:39]
	v_pk_add_f32 v[46:47], v[46:47], v[2:3] op_sel_hi:[1,0]
	v_pk_add_f32 v[26:27], v[26:27], v[38:39]
	v_pk_fma_f32 v[38:39], v[40:41], s[88:89], v[182:183] op_sel:[1,0,0]
	v_pk_add_f32 v[26:27], v[28:29], v[26:27]
	v_pk_fma_f32 v[28:29], v[58:59], s[14:15], v[160:161] op_sel:[1,0,0]
	;; [unrolled: 2-line block ×5, first 2 shown]
	v_pk_add_f32 v[26:27], v[36:37], v[26:27]
	ds_write2_b32 v147, v26, v27 offset0:8 offset1:9
	v_pk_fma_f32 v[26:27], v[56:57], s[64:65], v[156:157] op_sel:[1,0,0]
	v_pk_fma_f32 v[36:37], v[52:53], s[90:91], v[178:179] op_sel:[1,0,0]
	v_pk_add_f32 v[26:27], v[26:27], v[46:47]
	v_pk_fma_f32 v[46:47], v[54:55], s[20:21], v[170:171] op_sel:[1,0,0]
	v_pk_add_f32 v[26:27], v[28:29], v[26:27]
	v_pk_add_f32 v[46:47], v[46:47], v[2:3] op_sel_hi:[1,0]
	v_pk_add_f32 v[26:27], v[30:31], v[26:27]
	v_pk_fma_f32 v[28:29], v[58:59], s[4:5], v[134:135] op_sel:[1,0,0]
	v_pk_add_f32 v[26:27], v[32:33], v[26:27]
	v_pk_fma_f32 v[30:31], v[60:61], s[38:39], v[136:137] op_sel:[1,0,0]
	;; [unrolled: 2-line block ×3, first 2 shown]
	v_pk_add_f32 v[26:27], v[36:37], v[26:27]
	v_mov_b32_e32 v91, v65
	v_pk_add_f32 v[26:27], v[38:39], v[26:27]
	ds_write2_b32 v147, v27, v26 offset0:10 offset1:11
	v_pk_fma_f32 v[26:27], v[56:57], s[40:41], v[132:133] op_sel:[1,0,0]
	v_pk_fma_f32 v[34:35], v[50:51], s[82:83], v[140:141] op_sel:[1,0,0]
	v_pk_add_f32 v[26:27], v[26:27], v[46:47]
	v_pk_add_f32 v[76:77], v[76:77], v[90:91]
	;; [unrolled: 1-line block ×3, first 2 shown]
	v_mov_b32_e32 v112, v79
	v_pk_add_f32 v[26:27], v[30:31], v[26:27]
	v_pk_fma_f32 v[36:37], v[52:53], s[72:73], v[142:143] op_sel:[1,0,0]
	v_pk_add_f32 v[26:27], v[32:33], v[26:27]
	v_pk_add_f32 v[78:79], v[112:113], v[76:77]
	;; [unrolled: 1-line block ×3, first 2 shown]
	v_pk_mul_f32 v[80:81], v[112:113], v[76:77]
	v_pk_fma_f32 v[38:39], v[40:41], s[28:29], v[144:145] op_sel:[1,0,0]
	v_pk_add_f32 v[26:27], v[36:37], v[26:27]
	v_lshlrev_b32_e32 v16, 6, v146
	v_mov_b32_e32 v79, v81
	v_mov_b32_e32 v88, v83
	v_fmac_f32_e32 v81, 0x3eb8f4ab, v54
	v_pk_add_f32 v[26:27], v[38:39], v[26:27]
	v_pk_fma_f32 v[38:39], v[40:41], s[44:45], v[128:129] op_sel:[1,0,0]
	s_mov_b64 s[68:69], s[44:45]
	v_sub_u32_e32 v114, v147, v16
	v_pk_add_f32 v[78:79], v[88:89], v[78:79]
	v_mov_b32_e32 v82, v85
	v_mov_b32_e32 v83, v3
	v_add_f32_e32 v16, v81, v3
	v_mov_b32_e32 v80, v56
	v_mov_b32_e32 v81, v54
	s_mov_b32 s45, s17
	v_pk_fma_f32 v[46:47], v[54:55], s[2:3], v[130:131] op_sel:[1,0,0]
	v_pk_add_f32 v[78:79], v[82:83], v[78:79]
	v_pk_mul_f32 v[80:81], v[80:81], s[44:45]
	v_mov_b32_e32 v82, v1
	v_mov_b32_e32 v83, v77
	s_mov_b32 s44, s9
	s_mov_b32 s45, s16
	ds_write2_b32 v147, v27, v26 offset0:12 offset1:13
	v_pk_fma_f32 v[26:27], v[56:57], s[98:99], v[116:117] op_sel:[1,0,0]
	v_pk_add_f32 v[46:47], v[46:47], v[2:3] op_sel_hi:[1,0]
	v_pk_fma_f32 v[84:85], v[82:83], s[44:45], v[80:81]
	v_pk_fma_f32 v[80:81], v[82:83], s[44:45], v[80:81] neg_lo:[0,0,1] neg_hi:[0,0,1]
	v_mov_b32_e32 v86, v75
	v_pk_fma_f32 v[28:29], v[58:59], s[58:59], v[118:119] op_sel:[1,0,0]
	v_pk_add_f32 v[26:27], v[26:27], v[46:47]
	v_add_f32_e32 v44, v81, v3
	v_pk_add_f32 v[74:75], v[86:87], v[78:79]
	v_mov_b32_e32 v92, v73
	v_pk_fma_f32 v[30:31], v[60:61], s[50:51], v[120:121] op_sel:[1,0,0]
	v_pk_add_f32 v[26:27], v[28:29], v[26:27]
	v_add_f32_e32 v44, v80, v44
	v_pk_add_f32 v[72:73], v[92:93], v[74:75]
	v_mov_b32_e32 v94, v71
	v_pk_fma_f32 v[32:33], v[48:49], s[56:57], v[122:123] op_sel:[1,0,0]
	v_pk_add_f32 v[26:27], v[30:31], v[26:27]
	v_add_f32_e32 v44, v99, v44
	v_pk_add_f32 v[70:71], v[94:95], v[72:73]
	v_mov_b32_e32 v100, v69
	v_pk_fma_f32 v[34:35], v[50:51], s[22:23], v[124:125] op_sel:[1,0,0]
	v_pk_add_f32 v[26:27], v[32:33], v[26:27]
	v_add_f32_e32 v42, v85, v3
	v_add_f32_e32 v44, v98, v44
	v_pk_add_f32 v[68:69], v[100:101], v[70:71]
	v_mov_b32_e32 v102, v67
	v_pk_fma_f32 v[36:37], v[52:53], s[26:27], v[126:127] op_sel:[1,0,0]
	v_pk_add_f32 v[26:27], v[34:35], v[26:27]
	v_add_f32_e32 v42, v84, v42
	v_add_f32_e32 v62, v107, v44
	v_pk_add_f32 v[66:67], v[102:103], v[68:69]
	v_mov_b32_e32 v108, v63
	v_pk_add_f32 v[26:27], v[36:37], v[26:27]
	v_add_f32_e32 v42, v97, v42
	v_add_f32_e32 v97, v106, v62
	v_pk_add_f32 v[62:63], v[108:109], v[66:67]
	v_mov_b32_e32 v110, v65
	v_pk_add_f32 v[26:27], v[38:39], v[26:27]
	v_add_u32_e32 v46, 0x200, v114
	v_add_u32_e32 v117, 0x400, v114
	;; [unrolled: 1-line block ×7, first 2 shown]
	v_pk_add_f32 v[62:63], v[110:111], v[62:63]
	ds_write2_b32 v147, v27, v26 offset0:14 offset1:15
	ds_write_b32 v147, v25 offset:64
	s_waitcnt lgkmcnt(0)
	s_barrier
	ds_read2_b32 v[30:31], v114 offset1:102
	ds_read2_b32 v[38:39], v46 offset0:76 offset1:178
	ds_read2_b32 v[34:35], v117 offset0:152 offset1:254
	;; [unrolled: 1-line block ×7, first 2 shown]
	ds_read_b32 v47, v114 offset:6528
	s_waitcnt lgkmcnt(0)
	s_barrier
	ds_write2_b32 v147, v62, v63 offset1:1
	v_pk_mul_f32 v[62:63], v[54:55], s[2:3] op_sel_hi:[0,1]
	v_readlane_b32 s2, v155, 8
	v_pk_mul_f32 v[64:65], v[56:57], s[98:99] op_sel_hi:[0,1]
	v_readlane_b32 s3, v155, 9
	v_pk_fma_f32 v[94:95], v[76:77], s[36:37], v[62:63] op_sel:[1,0,0]
	v_pk_mul_f32 v[66:67], v[58:59], s[58:59] op_sel_hi:[0,1]
	v_pk_fma_f32 v[80:81], v[0:1], s[2:3], v[64:65] op_sel:[1,0,0]
	v_pk_add_f32 v[94:95], v[94:95], v[2:3] op_sel:[0,1]
	v_pk_fma_f32 v[82:83], v[4:5], s[42:43], v[66:67] op_sel:[1,0,0]
	v_pk_mul_f32 v[68:69], v[60:61], s[50:51] op_sel_hi:[0,1]
	v_readlane_b32 s44, v155, 10
	v_pk_add_f32 v[80:81], v[80:81], v[94:95]
	v_pk_fma_f32 v[84:85], v[6:7], s[48:49], v[68:69] op_sel:[1,0,0]
	v_pk_mul_f32 v[70:71], v[48:49], s[56:57] op_sel_hi:[0,1]
	v_readlane_b32 s45, v155, 11
	v_pk_add_f32 v[80:81], v[82:83], v[80:81]
	v_pk_mul_f32 v[72:73], v[50:51], s[22:23] op_sel_hi:[0,1]
	v_pk_fma_f32 v[86:87], v[8:9], s[44:45], v[70:71] op_sel:[1,0,0]
	v_pk_add_f32 v[80:81], v[84:85], v[80:81]
	v_pk_fma_f32 v[88:89], v[10:11], s[8:9], v[72:73] op_sel:[1,0,0]
	v_pk_mul_f32 v[74:75], v[52:53], s[26:27] op_sel_hi:[0,1]
	v_pk_add_f32 v[80:81], v[86:87], v[80:81]
	v_pk_fma_f32 v[90:91], v[12:13], s[34:35], v[74:75] op_sel:[1,0,0]
	v_pk_mul_f32 v[78:79], v[40:41], s[68:69] op_sel_hi:[0,1]
	v_pk_add_f32 v[80:81], v[88:89], v[80:81]
	v_pk_fma_f32 v[92:93], v[14:15], s[18:19], v[78:79] op_sel:[1,0,0]
	v_pk_add_f32 v[80:81], v[90:91], v[80:81]
	v_pk_mul_f32 v[82:83], v[56:57], s[40:41] op_sel_hi:[0,1]
	v_pk_add_f32 v[80:81], v[92:93], v[80:81]
	ds_write2_b32 v147, v80, v81 offset0:2 offset1:3
	v_pk_mul_f32 v[80:81], v[54:55], s[20:21] op_sel_hi:[0,1]
	v_readlane_b32 s20, v155, 12
	v_readlane_b32 s21, v155, 13
	v_pk_mul_f32 v[84:85], v[58:59], s[4:5] op_sel_hi:[0,1]
	v_readlane_b32 s4, v155, 14
	v_pk_fma_f32 v[122:123], v[76:77], s[12:13], v[80:81] op_sel:[1,0,0]
	v_pk_fma_f32 v[98:99], v[0:1], s[20:21], v[82:83] op_sel:[1,0,0]
	v_readlane_b32 s5, v155, 15
	v_pk_mul_f32 v[86:87], v[60:61], s[38:39] op_sel_hi:[0,1]
	v_readlane_b32 s38, v155, 16
	v_pk_add_f32 v[122:123], v[122:123], v[2:3] op_sel:[0,1]
	v_add_f32_e32 v42, v96, v42
	v_pk_fma_f32 v[100:101], v[4:5], s[4:5], v[84:85] op_sel:[1,0,0]
	v_readlane_b32 s39, v155, 17
	v_pk_add_f32 v[98:99], v[98:99], v[122:123]
	v_add_f32_e32 v42, v105, v42
	v_pk_fma_f32 v[102:103], v[6:7], s[38:39], v[86:87] op_sel:[1,0,0]
	v_pk_mul_f32 v[88:89], v[48:49], s[0:1] op_sel_hi:[0,1]
	v_readlane_b32 s0, v155, 18
	v_pk_add_f32 v[98:99], v[100:101], v[98:99]
	v_add_f32_e32 v44, v104, v42
	v_pk_fma_f32 v[104:105], v[8:9], s[66:67], v[88:89] op_sel:[1,0,0]
	v_pk_mul_f32 v[90:91], v[50:51], s[82:83] op_sel_hi:[0,1]
	v_readlane_b32 s1, v155, 19
	v_readlane_b32 s40, v155, 20
	v_pk_add_f32 v[98:99], v[102:103], v[98:99]
	v_pk_fma_f32 v[106:107], v[10:11], s[0:1], v[90:91] op_sel:[1,0,0]
	v_pk_mul_f32 v[92:93], v[52:53], s[72:73] op_sel_hi:[0,1]
	v_readlane_b32 s41, v155, 21
	v_pk_add_f32 v[98:99], v[104:105], v[98:99]
	v_pk_mul_f32 v[94:95], v[40:41], s[28:29] op_sel_hi:[0,1]
	v_pk_fma_f32 v[110:111], v[12:13], s[40:41], v[92:93] op_sel:[1,0,0]
	v_pk_add_f32 v[98:99], v[106:107], v[98:99]
	v_pk_fma_f32 v[112:113], v[14:15], s[70:71], v[94:95] op_sel:[1,0,0]
	v_pk_add_f32 v[98:99], v[110:111], v[98:99]
	v_pk_mul_f32 v[54:55], v[54:55], s[60:61] op_sel_hi:[0,1]
	v_pk_add_f32 v[98:99], v[112:113], v[98:99]
	v_pk_mul_f32 v[56:57], v[56:57], s[64:65] op_sel_hi:[0,1]
	v_pk_fma_f32 v[122:123], v[76:77], s[6:7], v[54:55] op_sel:[1,0,0]
	ds_write2_b32 v147, v98, v99 offset0:4 offset1:5
	v_pk_fma_f32 v[98:99], v[0:1], s[74:75], v[56:57] op_sel:[1,0,0]
	v_pk_mul_f32 v[58:59], v[58:59], s[14:15] op_sel_hi:[0,1]
	v_pk_add_f32 v[122:123], v[122:123], v[2:3] op_sel:[0,1]
	v_pk_fma_f32 v[100:101], v[4:5], s[76:77], v[58:59] op_sel:[1,0,0]
	v_pk_mul_f32 v[60:61], v[60:61], s[96:97] op_sel_hi:[0,1]
	v_pk_add_f32 v[98:99], v[98:99], v[122:123]
	v_add_f32_e32 v16, v148, v16
	v_pk_fma_f32 v[102:103], v[6:7], s[78:79], v[60:61] op_sel:[1,0,0]
	v_pk_mul_f32 v[48:49], v[48:49], s[94:95] op_sel_hi:[0,1]
	v_pk_add_f32 v[98:99], v[100:101], v[98:99]
	v_add_f32_e32 v16, v149, v16
	;; [unrolled: 4-line block ×5, first 2 shown]
	v_pk_fma_f32 v[112:113], v[14:15], s[86:87], v[40:41] op_sel:[1,0,0]
	v_pk_add_f32 v[98:99], v[110:111], v[98:99]
	v_add_f32_e32 v16, v153, v16
	v_pk_add_f32 v[98:99], v[112:113], v[98:99]
	v_mov_b32_e32 v42, v18
	v_add_f32_e32 v108, v154, v16
	ds_write2_b32 v147, v98, v99 offset0:6 offset1:7
	v_pk_add_f32 v[18:19], v[44:45], v[18:19]
	v_pk_add_f32 v[98:99], v[44:45], v[42:43] neg_lo:[0,1] neg_hi:[0,1]
	v_mov_b32_e32 v96, v45
	v_mov_b32_e32 v16, v43
	;; [unrolled: 1-line block ×3, first 2 shown]
	v_pk_add_f32 v[16:17], v[96:97], v[16:17]
	v_pk_fma_f32 v[44:45], v[8:9], s[80:81], v[48:49] op_sel:[1,0,0] neg_lo:[0,0,1] neg_hi:[0,0,1]
	v_pk_add_f32 v[16:17], v[16:17], v[18:19]
	v_pk_fma_f32 v[48:49], v[10:11], s[24:25], v[50:51] op_sel:[1,0,0] neg_lo:[0,0,1] neg_hi:[0,0,1]
	v_pk_fma_f32 v[50:51], v[12:13], s[84:85], v[52:53] op_sel:[1,0,0] neg_lo:[0,0,1] neg_hi:[0,0,1]
	;; [unrolled: 1-line block ×3, first 2 shown]
	ds_write2_b32 v147, v16, v17 offset0:8 offset1:9
	v_pk_fma_f32 v[16:17], v[0:1], s[74:75], v[56:57] op_sel:[1,0,0] neg_lo:[0,0,1] neg_hi:[0,0,1]
	v_pk_add_f32 v[52:53], v[52:53], v[2:3] op_sel:[0,1]
	v_pk_fma_f32 v[18:19], v[4:5], s[76:77], v[58:59] op_sel:[1,0,0] neg_lo:[0,0,1] neg_hi:[0,0,1]
	v_pk_add_f32 v[16:17], v[16:17], v[52:53]
	v_pk_fma_f32 v[42:43], v[6:7], s[78:79], v[60:61] op_sel:[1,0,0] neg_lo:[0,0,1] neg_hi:[0,0,1]
	v_pk_add_f32 v[16:17], v[18:19], v[16:17]
	;; [unrolled: 2-line block ×4, first 2 shown]
	v_pk_add_f32 v[52:53], v[52:53], v[2:3] op_sel:[0,1]
	v_pk_add_f32 v[16:17], v[48:49], v[16:17]
	v_pk_fma_f32 v[18:19], v[4:5], s[4:5], v[84:85] op_sel:[1,0,0] neg_lo:[0,0,1] neg_hi:[0,0,1]
	v_pk_add_f32 v[16:17], v[50:51], v[16:17]
	v_pk_fma_f32 v[42:43], v[8:9], s[66:67], v[88:89] op_sel:[1,0,0] neg_lo:[0,0,1] neg_hi:[0,0,1]
	v_pk_add_f32 v[16:17], v[40:41], v[16:17]
	ds_write2_b32 v147, v17, v16 offset0:10 offset1:11
	v_pk_fma_f32 v[16:17], v[0:1], s[20:21], v[82:83] op_sel:[1,0,0] neg_lo:[0,0,1] neg_hi:[0,0,1]
	v_pk_fma_f32 v[40:41], v[6:7], s[38:39], v[86:87] op_sel:[1,0,0] neg_lo:[0,0,1] neg_hi:[0,0,1]
	v_pk_add_f32 v[16:17], v[16:17], v[52:53]
	v_pk_fma_f32 v[44:45], v[10:11], s[0:1], v[90:91] op_sel:[1,0,0] neg_lo:[0,0,1] neg_hi:[0,0,1]
	v_pk_add_f32 v[16:17], v[18:19], v[16:17]
	s_mov_b64 s[20:21], s[40:41]
	v_pk_add_f32 v[16:17], v[40:41], v[16:17]
	v_pk_fma_f32 v[48:49], v[12:13], s[20:21], v[92:93] op_sel:[1,0,0] neg_lo:[0,0,1] neg_hi:[0,0,1]
	v_pk_add_f32 v[16:17], v[42:43], v[16:17]
	v_pk_fma_f32 v[50:51], v[14:15], s[70:71], v[94:95] op_sel:[1,0,0] neg_lo:[0,0,1] neg_hi:[0,0,1]
	;; [unrolled: 2-line block ×4, first 2 shown]
	v_pk_add_f32 v[16:17], v[50:51], v[16:17]
	ds_write2_b32 v147, v17, v16 offset0:12 offset1:13
	v_pk_fma_f32 v[16:17], v[76:77], s[36:37], v[62:63] op_sel:[1,0,0] neg_lo:[0,0,1] neg_hi:[0,0,1]
	v_pk_fma_f32 v[6:7], v[6:7], s[48:49], v[68:69] op_sel:[1,0,0] neg_lo:[0,0,1] neg_hi:[0,0,1]
	v_pk_add_f32 v[2:3], v[16:17], v[2:3] op_sel:[0,1]
	v_pk_fma_f32 v[8:9], v[8:9], s[44:45], v[70:71] op_sel:[1,0,0] neg_lo:[0,0,1] neg_hi:[0,0,1]
	v_pk_add_f32 v[0:1], v[0:1], v[2:3]
	v_pk_fma_f32 v[10:11], v[10:11], s[8:9], v[72:73] op_sel:[1,0,0] neg_lo:[0,0,1] neg_hi:[0,0,1]
	v_pk_add_f32 v[0:1], v[4:5], v[0:1]
	v_pk_fma_f32 v[12:13], v[12:13], s[34:35], v[74:75] op_sel:[1,0,0] neg_lo:[0,0,1] neg_hi:[0,0,1]
	v_pk_add_f32 v[0:1], v[6:7], v[0:1]
	v_pk_fma_f32 v[14:15], v[14:15], s[18:19], v[78:79] op_sel:[1,0,0] neg_lo:[0,0,1] neg_hi:[0,0,1]
	v_pk_add_f32 v[0:1], v[8:9], v[0:1]
	s_movk_i32 s0, 0xf1
	v_pk_add_f32 v[0:1], v[10:11], v[0:1]
	v_mov_b32_e32 v48, v38
	v_pk_add_f32 v[0:1], v[12:13], v[0:1]
	v_mov_b32_e32 v49, v31
	v_pk_add_f32 v[0:1], v[14:15], v[0:1]
	ds_write2_b32 v147, v1, v0 offset0:14 offset1:15
	ds_write_b32 v147, v108 offset:64
	v_mul_lo_u16_sdwa v0, v146, s0 dst_sel:DWORD dst_unused:UNUSED_PAD src0_sel:BYTE_0 src1_sel:DWORD
	v_lshrrev_b16_e32 v70, 12, v0
	v_mul_lo_u16_e32 v0, 17, v70
	v_sub_u16_e32 v71, v146, v0
	v_mov_b32_e32 v0, 7
	s_waitcnt lgkmcnt(0)
	s_barrier
	ds_read2_b32 v[40:41], v114 offset1:102
	ds_read2_b32 v[68:69], v46 offset0:76 offset1:178
	ds_read2_b32 v[58:59], v117 offset0:152 offset1:254
	ds_read2_b32 v[56:57], v116 offset0:100 offset1:202
	ds_read2_b32 v[52:53], v115 offset0:48 offset1:150
	ds_read2_b32 v[54:55], v118 offset0:124 offset1:226
	ds_read2_b32 v[76:77], v119 offset0:72 offset1:174
	ds_read2_b32 v[78:79], v120 offset0:148 offset1:250
	ds_read_b32 v81, v114 offset:6528
	v_lshlrev_b32_sdwa v46, v0, v71 dst_sel:DWORD dst_unused:UNUSED_PAD src0_sel:DWORD src1_sel:BYTE_0
	global_load_dwordx4 v[4:7], v46, s[52:53] offset:48
	global_load_dwordx4 v[12:15], v46, s[52:53] offset:32
	;; [unrolled: 1-line block ×3, first 2 shown]
	global_load_dwordx4 v[42:45], v46, s[52:53]
	global_load_dwordx4 v[0:3], v46, s[52:53] offset:64
	global_load_dwordx4 v[8:11], v46, s[52:53] offset:80
	global_load_dwordx4 v[72:75], v46, s[52:53] offset:96
	global_load_dwordx4 v[62:65], v46, s[52:53] offset:112
	s_waitcnt lgkmcnt(7)
	v_mov_b32_e32 v86, v68
	v_mov_b32_e32 v87, v41
	s_waitcnt lgkmcnt(1)
	v_mov_b32_e32 v80, v79
	v_mov_b32_e32 v46, v37
	s_mov_b32 s57, s63
	s_mov_b32 s0, s19
	;; [unrolled: 1-line block ×4, first 2 shown]
	s_mov_b64 s[6:7], s[2:3]
	s_mov_b32 s2, s11
	s_mov_b32 s5, 0xbf06c442
	;; [unrolled: 1-line block ×7, first 2 shown]
	s_waitcnt lgkmcnt(0)
	s_barrier
	s_waitcnt vmcnt(4)
	v_mov_b32_e32 v51, v42
	v_mov_b32_e32 v42, v45
	;; [unrolled: 1-line block ×3, first 2 shown]
	v_pk_mul_f32 v[44:45], v[86:87], v[42:43]
	v_pk_mul_f32 v[42:43], v[48:49], v[42:43]
	s_waitcnt vmcnt(0)
	v_mov_b32_e32 v85, v64
	v_pk_fma_f32 v[44:45], v[48:49], v[50:51], v[44:45] neg_lo:[0,0,1] neg_hi:[0,0,1]
	v_pk_fma_f32 v[48:49], v[86:87], v[50:51], v[42:43]
	v_mov_b32_e32 v43, v64
	v_mov_b32_e32 v64, v63
	;; [unrolled: 1-line block ×3, first 2 shown]
	v_pk_mul_f32 v[50:51], v[80:81], v[64:65]
	v_mov_b32_e32 v84, v63
	v_pk_fma_f32 v[50:51], v[46:47], v[42:43], v[50:51] neg_lo:[0,0,1] neg_hi:[0,0,1]
	v_mov_b32_e32 v46, v79
	v_mov_b32_e32 v63, v65
	;; [unrolled: 1-line block ×3, first 2 shown]
	v_pk_mul_f32 v[42:43], v[46:47], v[62:63]
	v_pk_add_f32 v[62:63], v[44:45], v[50:51]
	v_pk_fma_f32 v[42:43], v[80:81], v[84:85], v[42:43]
	v_mov_b32_e32 v83, v74
	v_pk_add_f32 v[64:65], v[48:49], v[42:43] neg_lo:[0,1] neg_hi:[0,1]
	v_mov_b32_e32 v82, v73
	v_pk_mul_f32 v[46:47], v[64:65], s[56:57]
	v_mul_f32_e32 v41, 0xbf4c4adb, v65
	v_pk_fma_f32 v[80:81], v[62:63], s[0:1], v[46:47] neg_lo:[0,0,1] neg_hi:[0,0,1]
	v_pk_fma_f32 v[46:47], v[62:63], s[0:1], v[46:47]
	v_add_f32_e32 v37, v30, v81
	v_add_f32_e32 v38, v30, v47
	v_fma_f32 v47, v63, s46, -v41
	v_fmac_f32_e32 v41, 0xbf1a4643, v63
	v_add_f32_e32 v80, v80, v37
	v_mul_f32_e32 v37, 0x3f763a35, v64
	v_add_f32_e32 v41, v30, v41
	v_mul_f32_e32 v68, 0xbf06c442, v65
	v_add_f32_e32 v85, v46, v38
	v_fma_f32 v38, v62, s62, -v37
	v_fmac_f32_e32 v37, 0xbe8c1d8e, v62
	v_add_f32_e32 v47, v30, v47
	v_fma_f32 v79, v63, s19, -v68
	v_fmac_f32_e32 v68, 0xbf59a7d5, v63
	v_add_f32_e32 v41, v37, v41
	v_mul_f32_e32 v37, 0x3f65296c, v64
	v_add_f32_e32 v68, v30, v68
	v_mul_f32_e32 v81, 0xbe3c28d5, v65
	v_add_f32_e32 v86, v38, v47
	v_fma_f32 v38, v62, s10, -v37
	v_fmac_f32_e32 v37, 0x3ee437d1, v62
	v_add_f32_e32 v79, v30, v79
	v_fma_f32 v84, v63, s16, -v81
	v_add_f32_e32 v87, v37, v68
	v_mul_f32_e32 v37, 0x3eb8f4ab, v64
	v_add_f32_e32 v84, v30, v84
	v_add_f32_e32 v79, v38, v79
	v_fma_f32 v38, v62, s9, -v37
	v_add_f32_e32 v84, v38, v84
	v_mov_b32_e32 v38, v34
	v_mov_b32_e32 v47, v16
	;; [unrolled: 1-line block ×5, first 2 shown]
	v_pk_mul_f32 v[18:19], v[68:69], v[16:17]
	v_pk_mul_f32 v[16:17], v[38:39], v[16:17]
	v_pk_fma_f32 v[18:19], v[38:39], v[46:47], v[18:19] neg_lo:[0,0,1] neg_hi:[0,0,1]
	v_pk_fma_f32 v[38:39], v[68:69], v[46:47], v[16:17]
	v_mov_b32_e32 v47, v74
	v_mov_b32_e32 v68, v77
	;; [unrolled: 1-line block ×4, first 2 shown]
	v_fmac_f32_e32 v81, 0xbf7ba420, v63
	v_mov_b32_e32 v16, v33
	v_mov_b32_e32 v17, v36
	;; [unrolled: 1-line block ×3, first 2 shown]
	v_pk_mul_f32 v[68:69], v[68:69], v[74:75]
	v_add_f32_e32 v81, v30, v81
	v_fmac_f32_e32 v37, 0x3f6eb680, v62
	v_pk_fma_f32 v[46:47], v[16:17], v[46:47], v[68:69] neg_lo:[0,0,1] neg_hi:[0,0,1]
	v_mov_b32_e32 v68, v77
	v_mov_b32_e32 v69, v36
	v_mov_b32_e32 v73, v75
	v_add_f32_e32 v81, v37, v81
	v_mov_b32_e32 v17, v78
	v_pk_mul_f32 v[36:37], v[68:69], v[72:73]
	s_mov_b32 s0, s10
	v_pk_fma_f32 v[16:17], v[16:17], v[82:83], v[36:37]
	v_pk_add_f32 v[36:37], v[18:19], v[46:47]
	v_pk_add_f32 v[68:69], v[38:39], v[16:17] neg_lo:[0,1] neg_hi:[0,1]
	s_mov_b32 s1, s54
	v_pk_mul_f32 v[72:73], v[68:69], s[2:3]
	v_mul_f32_e32 v58, 0xbeb8f4ab, v69
	v_pk_fma_f32 v[74:75], v[36:37], s[0:1], v[72:73] neg_lo:[0,0,1] neg_hi:[0,0,1]
	v_pk_fma_f32 v[72:73], v[36:37], s[0:1], v[72:73]
	v_add_f32_e32 v33, v75, v80
	v_add_f32_e32 v34, v73, v85
	v_fma_f32 v73, v37, s9, -v58
	v_fmac_f32_e32 v58, 0x3f6eb680, v37
	v_add_f32_e32 v41, v58, v41
	v_mul_f32_e32 v58, 0xbf7ee86f, v69
	v_fma_f32 v75, v37, s30, -v58
	v_add_f32_e32 v74, v74, v33
	v_mul_f32_e32 v33, 0xbf06c442, v68
	v_add_f32_e32 v75, v75, v79
	v_add_f32_e32 v79, v72, v34
	v_fma_f32 v34, v36, s19, -v33
	v_fmac_f32_e32 v33, 0xbf59a7d5, v36
	v_add_f32_e32 v73, v73, v86
	v_fmac_f32_e32 v58, 0x3dbcf732, v37
	v_mul_f32_e32 v77, 0xbf06c442, v69
	v_add_f32_e32 v41, v33, v41
	v_mul_f32_e32 v33, 0x3f4c4adb, v68
	v_add_f32_e32 v58, v58, v87
	v_fma_f32 v78, v37, s19, -v77
	v_fmac_f32_e32 v77, 0xbf59a7d5, v37
	v_add_f32_e32 v80, v34, v73
	v_fma_f32 v34, v36, s46, -v33
	v_fmac_f32_e32 v33, 0xbf1a4643, v36
	v_add_f32_e32 v77, v77, v81
	v_add_f32_e32 v81, v33, v58
	v_mul_f32_e32 v33, 0x3f2c7751, v68
	v_add_f32_e32 v78, v78, v84
	v_add_f32_e32 v75, v34, v75
	v_fma_f32 v34, v36, s54, -v33
	v_add_f32_e32 v78, v34, v78
	v_mov_b32_e32 v34, v28
	v_mov_b32_e32 v73, v12
	;; [unrolled: 1-line block ×5, first 2 shown]
	v_pk_mul_f32 v[14:15], v[58:59], v[12:13]
	v_pk_mul_f32 v[12:13], v[34:35], v[12:13]
	v_mov_b32_e32 v67, v10
	v_pk_fma_f32 v[14:15], v[34:35], v[72:73], v[14:15] neg_lo:[0,0,1] neg_hi:[0,0,1]
	v_pk_fma_f32 v[12:13], v[58:59], v[72:73], v[12:13]
	v_mov_b32_e32 v59, v10
	v_mov_b32_e32 v72, v55
	;; [unrolled: 1-line block ×7, first 2 shown]
	v_pk_mul_f32 v[72:73], v[72:73], v[10:11]
	v_mov_b32_e32 v66, v9
	v_add_f32_e32 v31, v30, v45
	v_pk_fma_f32 v[34:35], v[34:35], v[58:59], v[72:73] neg_lo:[0,0,1] neg_hi:[0,0,1]
	v_mov_b32_e32 v72, v55
	v_mov_b32_e32 v73, v32
	;; [unrolled: 1-line block ×3, first 2 shown]
	v_add_f32_e32 v31, v31, v44
	v_mov_b32_e32 v58, v25
	v_mov_b32_e32 v59, v76
	v_pk_mul_f32 v[8:9], v[72:73], v[8:9]
	v_add_f32_e32 v31, v31, v19
	v_pk_fma_f32 v[8:9], v[58:59], v[66:67], v[8:9]
	v_add_f32_e32 v31, v31, v18
	v_fmac_f32_e32 v33, 0x3f3d2fb0, v36
	v_pk_add_f32 v[58:59], v[12:13], v[8:9] neg_lo:[0,1] neg_hi:[0,1]
	v_add_f32_e32 v77, v33, v77
	v_add_f32_e32 v10, v31, v15
	v_pk_add_f32 v[32:33], v[14:15], v[34:35]
	s_mov_b32 s2, s83
	s_mov_b32 s3, s17
	v_mul_f32_e32 v31, 0x3f7ee86f, v59
	v_add_f32_e32 v25, v10, v14
	s_mov_b32 s0, s30
	s_mov_b32 s1, s16
	v_pk_mul_f32 v[10:11], v[58:59], s[2:3]
	v_fma_f32 v55, v33, s30, -v31
	v_fmac_f32_e32 v31, 0x3dbcf732, v33
	v_pk_fma_f32 v[66:67], v[32:33], s[0:1], v[10:11] neg_lo:[0,0,1] neg_hi:[0,0,1]
	v_pk_fma_f32 v[10:11], v[32:33], s[0:1], v[10:11]
	v_add_f32_e32 v31, v31, v41
	v_mul_f32_e32 v41, 0xbeb8f4ab, v59
	v_add_f32_e32 v11, v11, v79
	v_fma_f32 v56, v33, s9, -v41
	v_add_f32_e32 v56, v56, v75
	v_add_f32_e32 v75, v10, v11
	v_mul_f32_e32 v10, 0xbf2c7751, v58
	v_fma_f32 v11, v32, s54, -v10
	v_fmac_f32_e32 v10, 0x3f3d2fb0, v32
	v_add_f32_e32 v55, v55, v80
	v_fmac_f32_e32 v41, 0x3f6eb680, v33
	v_add_f32_e32 v76, v10, v31
	v_mul_f32_e32 v10, 0xbe3c28d5, v58
	v_add_f32_e32 v28, v67, v74
	v_add_f32_e32 v41, v41, v81
	v_mul_f32_e32 v67, 0xbf4c4adb, v59
	v_add_f32_e32 v55, v11, v55
	v_fma_f32 v11, v32, s16, -v10
	v_fmac_f32_e32 v10, 0xbf7ba420, v32
	v_fma_f32 v72, v33, s46, -v67
	v_fmac_f32_e32 v67, 0xbf1a4643, v33
	v_add_f32_e32 v41, v10, v41
	v_mul_f32_e32 v10, 0x3f65296c, v58
	v_add_f32_e32 v72, v72, v78
	v_add_f32_e32 v67, v67, v77
	;; [unrolled: 1-line block ×3, first 2 shown]
	v_fma_f32 v11, v32, s10, -v10
	v_fmac_f32_e32 v10, 0x3ee437d1, v32
	v_add_f32_e32 v78, v11, v72
	v_add_f32_e32 v79, v10, v67
	s_mov_b32 s2, s9
	s_mov_b32 s3, s54
	v_pk_mul_f32 v[10:11], v[64:65], s[4:5] op_sel:[1,0]
	v_add_f32_e32 v74, v66, v28
	v_pk_fma_f32 v[66:67], v[62:63], s[2:3], v[10:11] op_sel:[1,0,0] neg_lo:[0,0,1] neg_hi:[0,0,1]
	s_mov_b32 s4, s55
	s_mov_b32 s5, s31
	v_add_f32_e32 v28, v30, v66
	v_add_f32_e32 v31, v30, v67
	v_pk_fma_f32 v[10:11], v[62:63], s[2:3], v[10:11] op_sel:[1,0,0]
	s_mov_b32 s2, s54
	s_mov_b32 s3, s30
	v_pk_mul_f32 v[66:67], v[64:65], s[4:5] op_sel_hi:[0,1]
	v_pk_add_f32 v[10:11], v[30:31], v[10:11] op_sel_hi:[0,1]
	v_pk_fma_f32 v[72:73], v[62:63], s[2:3], v[66:67] op_sel_hi:[0,1,1] neg_lo:[0,0,1] neg_hi:[0,0,1]
	v_pk_fma_f32 v[66:67], v[62:63], s[2:3], v[66:67] op_sel_hi:[0,1,1]
	s_mov_b32 s2, s11
	s_mov_b32 s3, s47
	v_pk_add_f32 v[10:11], v[66:67], v[10:11]
	v_pk_mul_f32 v[66:67], v[68:69], s[2:3] op_sel:[1,0]
	v_readlane_b32 s2, v155, 6
	v_readlane_b32 s3, v155, 7
	v_add_f32_e32 v28, v72, v28
	v_add_f32_e32 v31, v73, v31
	v_pk_fma_f32 v[72:73], v[36:37], s[2:3], v[66:67] op_sel:[1,0,0] neg_lo:[0,0,1] neg_hi:[0,0,1]
	v_pk_fma_f32 v[66:67], v[36:37], s[2:3], v[66:67] op_sel:[1,0,0]
	s_mov_b32 s2, s31
	s_mov_b32 s3, s17
	v_pk_add_f32 v[10:11], v[66:67], v[10:11]
	v_pk_mul_f32 v[66:67], v[68:69], s[2:3] op_sel_hi:[0,1]
	v_add_f32_e32 v28, v72, v28
	v_add_f32_e32 v31, v73, v31
	v_pk_fma_f32 v[72:73], v[36:37], s[0:1], v[66:67] op_sel_hi:[0,1,1] neg_lo:[0,0,1] neg_hi:[0,0,1]
	v_pk_fma_f32 v[66:67], v[36:37], s[0:1], v[66:67] op_sel_hi:[0,1,1]
	s_mov_b32 s2, s63
	s_mov_b32 s3, s56
	v_pk_add_f32 v[10:11], v[66:67], v[10:11]
	s_mov_b32 s0, s62
	s_mov_b32 s1, s19
	v_pk_mul_f32 v[66:67], v[58:59], s[2:3] op_sel:[1,0]
	v_add_f32_e32 v28, v72, v28
	v_add_f32_e32 v31, v73, v31
	v_pk_fma_f32 v[72:73], v[32:33], s[0:1], v[66:67] op_sel:[1,0,0] neg_lo:[0,0,1] neg_hi:[0,0,1]
	v_pk_fma_f32 v[66:67], v[32:33], s[0:1], v[66:67] op_sel:[1,0,0]
	s_mov_b32 s0, s46
	v_pk_add_f32 v[10:11], v[66:67], v[10:11]
	s_mov_b32 s1, s62
	v_pk_mul_f32 v[66:67], v[58:59], s[50:51] op_sel_hi:[0,1]
	v_add_f32_e32 v28, v72, v28
	v_add_f32_e32 v31, v73, v31
	v_pk_fma_f32 v[72:73], v[32:33], s[0:1], v[66:67] op_sel_hi:[0,1,1] neg_lo:[0,0,1] neg_hi:[0,0,1]
	v_pk_fma_f32 v[66:67], v[32:33], s[0:1], v[66:67] op_sel_hi:[0,1,1]
	s_mov_b32 s0, s11
	s_mov_b32 s1, s31
	v_pk_add_f32 v[10:11], v[66:67], v[10:11]
	v_pk_mul_f32 v[66:67], v[64:65], s[0:1] op_sel:[1,0]
	s_mov_b32 s0, s47
	s_mov_b32 s1, s17
	v_add_f32_e32 v80, v72, v28
	v_add_f32_e32 v81, v73, v31
	v_pk_fma_f32 v[72:73], v[62:63], s[34:35], v[66:67] op_sel:[1,0,0] neg_lo:[0,0,1] neg_hi:[0,0,1]
	v_pk_fma_f32 v[66:67], v[62:63], s[34:35], v[66:67] op_sel:[1,0,0]
	v_pk_mul_f32 v[64:65], v[64:65], s[0:1] op_sel_hi:[0,1]
	v_add_f32_e32 v28, v30, v72
	v_add_f32_e32 v56, v30, v73
	v_pk_add_f32 v[30:31], v[30:31], v[66:67] op_sel_hi:[0,1]
	v_pk_fma_f32 v[66:67], v[62:63], s[42:43], v[64:65] op_sel_hi:[0,1,1] neg_lo:[0,0,1] neg_hi:[0,0,1]
	v_pk_fma_f32 v[62:63], v[62:63], s[42:43], v[64:65] op_sel_hi:[0,1,1]
	s_mov_b32 s50, s59
	v_pk_add_f32 v[30:31], v[62:63], v[30:31]
	v_pk_mul_f32 v[62:63], v[68:69], s[50:51] op_sel:[1,0]
	s_mov_b32 s0, s51
	v_pk_fma_f32 v[64:65], v[36:37], s[48:49], v[62:63] op_sel:[1,0,0] neg_lo:[0,0,1] neg_hi:[0,0,1]
	v_pk_fma_f32 v[62:63], v[36:37], s[48:49], v[62:63] op_sel:[1,0,0]
	s_mov_b32 s1, s68
	v_add_f32_e32 v28, v66, v28
	v_add_f32_e32 v56, v67, v56
	v_pk_add_f32 v[30:31], v[62:63], v[30:31]
	v_pk_mul_f32 v[62:63], v[68:69], s[0:1] op_sel_hi:[0,1]
	s_mov_b32 s2, 0x3f2c7751
	v_add_f32_e32 v28, v64, v28
	v_add_f32_e32 v56, v65, v56
	v_pk_fma_f32 v[64:65], v[36:37], s[8:9], v[62:63] op_sel_hi:[0,1,1] neg_lo:[0,0,1] neg_hi:[0,0,1]
	v_pk_fma_f32 v[36:37], v[36:37], s[8:9], v[62:63] op_sel_hi:[0,1,1]
	s_mov_b32 s3, 0xbf06c442
	s_mov_b32 s0, s2
	;; [unrolled: 1-line block ×3, first 2 shown]
	v_pk_add_f32 v[30:31], v[36:37], v[30:31]
	v_pk_mul_f32 v[36:37], v[58:59], s[0:1] op_sel:[1,0]
	s_mov_b32 s0, s23
	v_pk_fma_f32 v[62:63], v[32:33], s[36:37], v[36:37] op_sel:[1,0,0] neg_lo:[0,0,1] neg_hi:[0,0,1]
	v_pk_fma_f32 v[36:37], v[32:33], s[36:37], v[36:37] op_sel:[1,0,0]
	s_mov_b32 s1, s3
	v_add_f32_e32 v56, v65, v56
	v_pk_add_f32 v[30:31], v[36:37], v[30:31]
	v_pk_mul_f32 v[36:37], v[58:59], s[0:1] op_sel_hi:[0,1]
	v_add_f32_e32 v28, v64, v28
	v_add_f32_e32 v56, v63, v56
	v_pk_fma_f32 v[58:59], v[32:33], s[18:19], v[36:37] op_sel_hi:[0,1,1] neg_lo:[0,0,1] neg_hi:[0,0,1]
	v_pk_fma_f32 v[32:33], v[32:33], s[18:19], v[36:37] op_sel_hi:[0,1,1]
	v_add_f32_e32 v28, v62, v28
	v_add_f32_e32 v63, v59, v56
	v_pk_add_f32 v[30:31], v[32:33], v[30:31]
	v_mov_b32_e32 v33, v4
	v_mov_b32_e32 v56, v52
	v_mov_b32_e32 v4, v7
	v_add_f32_e32 v62, v58, v28
	v_mov_b32_e32 v28, v26
	v_mov_b32_e32 v32, v6
	v_pk_mul_f32 v[6:7], v[56:57], v[4:5]
	v_mov_b32_e32 v61, v2
	v_pk_fma_f32 v[36:37], v[28:29], v[32:33], v[6:7] neg_lo:[0,0,1] neg_hi:[0,0,1]
	v_pk_mul_f32 v[4:5], v[28:29], v[4:5]
	v_mov_b32_e32 v7, v2
	v_mov_b32_e32 v28, v53
	;; [unrolled: 1-line block ×4, first 2 shown]
	v_pk_fma_f32 v[56:57], v[56:57], v[32:33], v[4:5]
	v_mov_b32_e32 v4, v27
	v_mov_b32_e32 v5, v24
	;; [unrolled: 1-line block ×3, first 2 shown]
	v_pk_mul_f32 v[28:29], v[28:29], v[2:3]
	v_mov_b32_e32 v60, v1
	v_pk_fma_f32 v[58:59], v[4:5], v[6:7], v[28:29] neg_lo:[0,0,1] neg_hi:[0,0,1]
	v_mov_b32_e32 v6, v53
	v_mov_b32_e32 v7, v24
	;; [unrolled: 1-line block ×4, first 2 shown]
	v_pk_mul_f32 v[0:1], v[6:7], v[0:1]
	v_pk_add_f32 v[6:7], v[36:37], v[58:59]
	v_pk_fma_f32 v[52:53], v[4:5], v[60:61], v[0:1]
	v_add_f32_e32 v0, v25, v37
	v_add_f32_e32 v0, v0, v36
	;; [unrolled: 1-line block ×9, first 2 shown]
	v_pk_add_f32 v[24:25], v[56:57], v[52:53] neg_lo:[0,1] neg_hi:[0,1]
	v_add_f32_e32 v32, v0, v51
	v_pk_mul_f32 v[0:1], v[24:25], s[22:23]
	s_mov_b64 s[0:1], s[40:41]
	v_pk_fma_f32 v[2:3], v[6:7], s[0:1], v[0:1] neg_lo:[0,0,1] neg_hi:[0,0,1]
	v_pk_fma_f32 v[26:27], v[6:7], s[0:1], v[0:1]
	v_mul_f32_e32 v0, 0xbe3c28d5, v25
	v_fma_f32 v1, v7, s16, -v0
	v_fmac_f32_e32 v0, 0xbf7ba420, v7
	v_add_f32_e32 v54, v0, v76
	v_mul_f32_e32 v0, 0x3f2c7751, v25
	s_mov_b32 s4, 0x3f2c7751
	v_add_f32_e32 v33, v1, v55
	v_fma_f32 v1, v7, s54, -v0
	v_fmac_f32_e32 v0, 0x3f3d2fb0, v7
	s_mov_b32 s5, 0xbf06c442
	v_add_f32_e32 v41, v0, v41
	v_mul_f32_e32 v0, 0xbf763a35, v25
	v_add_f32_e32 v55, v1, v77
	v_fma_f32 v1, v7, s62, -v0
	v_fmac_f32_e32 v0, 0xbe8c1d8e, v7
	s_mov_b32 s2, s5
	s_mov_b32 s3, s26
	v_add_f32_e32 v60, v1, v78
	v_add_f32_e32 v61, v0, v79
	s_mov_b32 s0, s19
	s_mov_b32 s1, s10
	v_pk_mul_f32 v[0:1], v[24:25], s[2:3] op_sel:[1,0]
	s_mov_b32 s8, s16
	v_pk_fma_f32 v[4:5], v[6:7], s[0:1], v[0:1] op_sel:[1,0,0] neg_lo:[0,0,1] neg_hi:[0,0,1]
	v_pk_fma_f32 v[0:1], v[6:7], s[0:1], v[0:1] op_sel:[1,0,0]
	s_mov_b32 s0, s17
	s_mov_b32 s1, s68
	v_add_f32_e32 v28, v4, v80
	v_add_f32_e32 v29, v5, v81
	v_pk_mul_f32 v[4:5], v[24:25], s[0:1] op_sel_hi:[0,1]
	v_pk_add_f32 v[0:1], v[0:1], v[10:11]
	v_pk_fma_f32 v[10:11], v[6:7], s[8:9], v[4:5] op_sel_hi:[0,1,1] neg_lo:[0,0,1] neg_hi:[0,0,1]
	v_pk_fma_f32 v[4:5], v[6:7], s[8:9], v[4:5] op_sel_hi:[0,1,1]
	s_mov_b32 s0, s31
	s_mov_b32 s1, s72
	v_pk_add_f32 v[0:1], v[4:5], v[0:1]
	v_pk_mul_f32 v[4:5], v[24:25], s[0:1] op_sel:[1,0]
	s_mov_b64 s[0:1], s[6:7]
	v_add_f32_e32 v64, v10, v28
	v_add_f32_e32 v65, v11, v29
	v_pk_fma_f32 v[10:11], v[6:7], s[0:1], v[4:5] op_sel:[1,0,0] neg_lo:[0,0,1] neg_hi:[0,0,1]
	v_pk_fma_f32 v[4:5], v[6:7], s[0:1], v[4:5] op_sel:[1,0,0]
	s_mov_b32 s0, s5
	s_mov_b32 s1, s4
	v_add_f32_e32 v62, v10, v62
	v_add_f32_e32 v63, v11, v63
	v_pk_mul_f32 v[10:11], v[24:25], s[0:1] op_sel_hi:[0,1]
	s_mov_b64 s[0:1], s[44:45]
	v_pk_add_f32 v[4:5], v[4:5], v[30:31]
	v_pk_fma_f32 v[28:29], v[6:7], s[0:1], v[10:11] op_sel_hi:[0,1,1] neg_lo:[0,0,1] neg_hi:[0,0,1]
	v_pk_fma_f32 v[10:11], v[6:7], s[0:1], v[10:11] op_sel_hi:[0,1,1]
	v_mul_f32_e32 v7, 0x3f65296c, v24
	v_pk_add_f32 v[4:5], v[10:11], v[4:5]
	v_fma_f32 v10, v6, s10, -v7
	v_fmac_f32_e32 v7, 0x3ee437d1, v6
	v_add_f32_e32 v3, v3, v74
	v_add_f32_e32 v27, v27, v75
	;; [unrolled: 1-line block ×3, first 2 shown]
	v_mul_f32_e32 v7, 0xbf763a35, v24
	v_add_f32_e32 v3, v2, v3
	v_add_f32_e32 v2, v26, v27
	v_fma_f32 v26, v6, s62, -v7
	v_fmac_f32_e32 v7, 0xbe8c1d8e, v6
	v_add_f32_e32 v27, v7, v41
	v_mul_f32_e32 v7, 0x3f7ee86f, v24
	v_add_f32_e32 v25, v28, v62
	v_add_f32_e32 v28, v29, v63
	v_fma_f32 v24, v6, s30, -v7
	v_fmac_f32_e32 v7, 0x3dbcf732, v6
	v_mov_b32_e32 v29, 2
	v_add_f32_e32 v6, v7, v61
	v_mul_u32_u24_e32 v7, 0x484, v70
	v_lshlrev_b32_sdwa v29, v29, v71 dst_sel:DWORD dst_unused:UNUSED_PAD src0_sel:DWORD src1_sel:BYTE_0
	v_add_f32_e32 v10, v10, v33
	v_add_f32_e32 v26, v26, v55
	;; [unrolled: 1-line block ×3, first 2 shown]
	v_add3_u32 v7, 0, v7, v29
	ds_write2_b32 v7, v32, v64 offset1:17
	ds_write2_b32 v7, v65, v25 offset0:34 offset1:51
	ds_write2_b32 v7, v28, v3 offset0:68 offset1:85
	;; [unrolled: 1-line block ×7, first 2 shown]
	ds_write_b32 v7, v0 offset:1088
	s_waitcnt lgkmcnt(0)
	s_barrier
	ds_read2_b32 v[10:11], v114 offset1:102
	ds_read2_b32 v[24:25], v117 offset0:33 offset1:135
	ds_read2_b32 v[32:33], v116 offset0:66 offset1:168
	ds_read2_b32 v[26:27], v115 offset0:99 offset1:201
	v_add_u32_e32 v3, 0x1000, v114
	ds_read2_b32 v[30:31], v3 offset0:132 offset1:234
	v_add_u32_e32 v3, 0x1600, v114
	ds_read2_b32 v[28:29], v3 offset0:37 offset1:139
	s_movk_i32 s0, 0x55
	s_movk_i32 s2, 0x54
	v_cmp_gt_u32_e64 s[0:1], s0, v146
	v_cmp_lt_u32_e64 s[2:3], s2, v146
	s_and_saveexec_b64 s[4:5], s[2:3]
	s_xor_b64 s[4:5], exec, s[4:5]
	s_or_saveexec_b64 s[4:5], s[4:5]
                                        ; implicit-def: $vgpr6
	s_xor_b64 exec, exec, s[4:5]
	s_cbranch_execz .LBB0_15
; %bb.14:
	ds_read_b32 v2, v114 offset:816
	ds_read_b32 v5, v114 offset:1972
	;; [unrolled: 1-line block ×6, first 2 shown]
.LBB0_15:
	s_or_b64 exec, exec, s[4:5]
	v_add_f32_e32 v3, v40, v49
	v_pk_add_f32 v[44:45], v[44:45], v[50:51] neg_lo:[0,1] neg_hi:[0,1]
	v_add_f32_e32 v3, v3, v48
	v_pk_add_f32 v[48:49], v[48:49], v[42:43]
	v_mul_f32_e32 v41, 0xbf763a35, v45
	s_mov_b32 s4, 0xbe8c1d8e
	s_mov_b32 s5, 0xbf59a7d5
	v_fmamk_f32 v50, v49, 0xbe8c1d8e, v41
	v_fma_f32 v41, v49, s4, -v41
	s_mov_b32 s6, 0x3ee437d1
	v_mul_f32_e32 v63, 0x3f06c442, v44
	v_add_f32_e32 v3, v3, v39
	v_pk_add_f32 v[18:19], v[18:19], v[46:47] neg_lo:[0,1] neg_hi:[0,1]
	v_add_f32_e32 v41, v40, v41
	v_mul_f32_e32 v51, 0xbf4c4adb, v45
	s_mov_b32 s7, 0xbf1a4643
	v_fmamk_f32 v64, v48, 0xbf59a7d5, v63
	v_fma_f32 v63, v48, s5, -v63
	v_add_f32_e32 v3, v3, v38
	v_pk_add_f32 v[38:39], v[38:39], v[16:17]
	v_mul_f32_e32 v46, 0x3f2c7751, v19
	s_mov_b32 s13, 0x3f3d2fb0
	v_add_f32_e32 v50, v40, v50
	v_fmamk_f32 v54, v49, 0xbf1a4643, v51
	v_fma_f32 v51, v49, s7, -v51
	v_add_f32_e32 v41, v63, v41
	v_mul_f32_e32 v63, 0x3f763a35, v44
	v_fmamk_f32 v47, v39, 0x3f3d2fb0, v46
	v_fma_f32 v46, v39, s13, -v46
	v_add_f32_e32 v51, v40, v51
	v_mul_f32_e32 v55, 0xbf06c442, v45
	v_add_f32_e32 v50, v64, v50
	v_fmamk_f32 v64, v48, 0xbe8c1d8e, v63
	v_fma_f32 v63, v48, s4, -v63
	s_mov_b32 s12, 0x3f6eb680
	v_add_f32_e32 v41, v46, v41
	v_mul_f32_e32 v46, 0xbeb8f4ab, v19
	v_add_f32_e32 v54, v40, v54
	v_fmamk_f32 v60, v49, 0xbf59a7d5, v55
	v_fma_f32 v55, v49, s5, -v55
	v_add_f32_e32 v51, v63, v51
	v_mul_f32_e32 v63, 0x3f65296c, v44
	v_add_f32_e32 v47, v47, v50
	v_fmamk_f32 v50, v39, 0x3f6eb680, v46
	v_fma_f32 v46, v39, s12, -v46
	v_add_f32_e32 v55, v40, v55
	v_mul_f32_e32 v61, 0xbe3c28d5, v45
	s_mov_b32 s15, 0xbf7ba420
	v_add_f32_e32 v54, v64, v54
	v_fmamk_f32 v64, v48, 0x3ee437d1, v63
	v_fma_f32 v63, v48, s6, -v63
	v_add_f32_e32 v46, v46, v51
	v_mul_f32_e32 v51, 0xbf7ee86f, v19
	s_mov_b32 s17, 0x3dbcf732
	v_add_f32_e32 v60, v40, v60
	v_fmamk_f32 v62, v49, 0xbf7ba420, v61
	v_fma_f32 v61, v49, s15, -v61
	v_add_f32_e32 v55, v63, v55
	v_mul_f32_e32 v63, 0x3eb8f4ab, v44
	v_add_f32_e32 v50, v50, v54
	v_fmamk_f32 v54, v39, 0x3dbcf732, v51
	v_fma_f32 v51, v39, s17, -v51
	v_add_f32_e32 v61, v40, v61
	v_add_f32_e32 v60, v64, v60
	v_fmamk_f32 v64, v48, 0x3f6eb680, v63
	v_fma_f32 v63, v48, s12, -v63
	v_add_f32_e32 v51, v51, v55
	v_mul_f32_e32 v55, 0xbf06c442, v19
	v_add_f32_e32 v62, v40, v62
	v_add_f32_e32 v61, v63, v61
	;; [unrolled: 1-line block ×3, first 2 shown]
	v_fmamk_f32 v60, v39, 0xbf59a7d5, v55
	v_fma_f32 v55, v39, s5, -v55
	v_add_f32_e32 v62, v64, v62
	v_add_f32_e32 v55, v55, v61
	v_mul_f32_e32 v61, 0xbf65296c, v18
	v_add_f32_e32 v3, v3, v13
	v_pk_add_f32 v[14:15], v[14:15], v[34:35] neg_lo:[0,1] neg_hi:[0,1]
	v_add_f32_e32 v60, v60, v62
	v_fmamk_f32 v62, v38, 0x3ee437d1, v61
	v_fma_f32 v61, v38, s6, -v61
	v_add_f32_e32 v3, v3, v12
	v_pk_add_f32 v[12:13], v[12:13], v[8:9]
	v_mul_f32_e32 v34, 0xbe3c28d5, v15
	v_add_f32_e32 v41, v61, v41
	v_mul_f32_e32 v61, 0xbf06c442, v18
	v_fmamk_f32 v35, v13, 0xbf7ba420, v34
	v_fma_f32 v34, v13, s15, -v34
	v_add_f32_e32 v47, v62, v47
	v_fmamk_f32 v62, v38, 0xbf59a7d5, v61
	v_fma_f32 v61, v38, s5, -v61
	v_add_f32_e32 v34, v34, v41
	v_mul_f32_e32 v41, 0x3f7ee86f, v15
	v_add_f32_e32 v46, v61, v46
	v_mul_f32_e32 v61, 0x3f4c4adb, v18
	v_add_f32_e32 v35, v35, v47
	v_fmamk_f32 v47, v13, 0x3dbcf732, v41
	v_fma_f32 v41, v13, s17, -v41
	v_add_f32_e32 v50, v62, v50
	v_fmamk_f32 v62, v38, 0xbf1a4643, v61
	v_fma_f32 v61, v38, s7, -v61
	v_add_f32_e32 v41, v41, v46
	v_mul_f32_e32 v46, 0xbeb8f4ab, v15
	v_add_f32_e32 v51, v61, v51
	v_mul_f32_e32 v61, 0x3f2c7751, v18
	v_add_f32_e32 v47, v47, v50
	v_fmamk_f32 v50, v13, 0x3f6eb680, v46
	v_fma_f32 v46, v13, s12, -v46
	v_add_f32_e32 v54, v62, v54
	v_fmamk_f32 v62, v38, 0x3f3d2fb0, v61
	v_fma_f32 v61, v38, s13, -v61
	v_add_f32_e32 v46, v46, v51
	v_mul_f32_e32 v51, 0xbf4c4adb, v15
	v_add_f32_e32 v55, v61, v55
	v_add_f32_e32 v50, v50, v54
	v_fmamk_f32 v54, v13, 0xbf1a4643, v51
	v_fma_f32 v51, v13, s7, -v51
	v_add_f32_e32 v60, v62, v60
	v_add_f32_e32 v51, v51, v55
	v_mul_f32_e32 v55, 0x3f7ee86f, v14
	v_add_f32_e32 v54, v54, v60
	v_fmamk_f32 v60, v12, 0x3dbcf732, v55
	v_add_f32_e32 v60, v60, v35
	v_fma_f32 v35, v12, s17, -v55
	v_add_f32_e32 v55, v35, v34
	v_mul_f32_e32 v34, 0xbf2c7751, v14
	v_fmamk_f32 v35, v12, 0x3f3d2fb0, v34
	v_fma_f32 v34, v12, s13, -v34
	v_add_f32_e32 v62, v34, v41
	v_mul_f32_e32 v34, 0xbe3c28d5, v14
	v_add_f32_e32 v61, v35, v47
	v_fmamk_f32 v35, v12, 0xbf7ba420, v34
	v_fma_f32 v34, v12, s15, -v34
	v_add_f32_e32 v64, v34, v46
	v_mul_f32_e32 v34, 0x3f65296c, v14
	s_mov_b32 s30, 0xbeb8f4ab
	s_mov_b32 s31, 0xbf2c7751
	v_add_f32_e32 v63, v35, v50
	v_fmamk_f32 v35, v12, 0x3ee437d1, v34
	v_fma_f32 v34, v12, s6, -v34
	v_add_f32_e32 v54, v35, v54
	v_add_f32_e32 v65, v34, v51
	v_pk_mul_f32 v[34:35], v[44:45], s[30:31] op_sel:[1,0]
	s_mov_b32 s23, 0xbf7ee86f
	v_pk_fma_f32 v[46:47], v[48:49], s[12:13], v[34:35] op_sel:[1,0,0]
	s_mov_b32 s22, s31
	s_mov_b32 s24, 0xbf65296c
	v_add_f32_e32 v41, v40, v46
	v_add_f32_e32 v66, v40, v47
	v_pk_fma_f32 v[34:35], v[48:49], s[12:13], v[34:35] op_sel:[1,0,0] neg_lo:[0,0,1] neg_hi:[0,0,1]
	s_mov_b32 s16, s13
	v_pk_mul_f32 v[46:47], v[44:45], s[22:23] op_sel_hi:[0,1]
	s_mov_b32 s25, 0xbf4c4adb
	v_pk_add_f32 v[34:35], v[40:41], v[34:35] op_sel_hi:[0,1]
	v_pk_fma_f32 v[50:51], v[48:49], s[16:17], v[46:47] op_sel_hi:[0,1,1]
	v_pk_fma_f32 v[46:47], v[48:49], s[16:17], v[46:47] op_sel_hi:[0,1,1] neg_lo:[0,0,1] neg_hi:[0,0,1]
	v_pk_add_f32 v[34:35], v[46:47], v[34:35]
	v_pk_mul_f32 v[46:47], v[18:19], s[24:25] op_sel:[1,0]
	s_mov_b32 s11, 0xbe3c28d5
	v_add_f32_e32 v41, v50, v41
	v_add_f32_e32 v66, v51, v66
	v_pk_fma_f32 v[50:51], v[38:39], s[6:7], v[46:47] op_sel:[1,0,0]
	v_pk_fma_f32 v[46:47], v[38:39], s[6:7], v[46:47] op_sel:[1,0,0] neg_lo:[0,0,1] neg_hi:[0,0,1]
	s_mov_b32 s10, s23
	s_mov_b32 s34, 0xbf763a35
	v_pk_add_f32 v[34:35], v[46:47], v[34:35]
	s_mov_b32 s14, s17
	v_pk_mul_f32 v[46:47], v[18:19], s[10:11] op_sel_hi:[0,1]
	s_mov_b32 s35, 0x3f06c442
	v_add_f32_e32 v41, v50, v41
	v_add_f32_e32 v66, v51, v66
	v_pk_fma_f32 v[50:51], v[38:39], s[14:15], v[46:47] op_sel_hi:[0,1,1]
	v_pk_fma_f32 v[46:47], v[38:39], s[14:15], v[46:47] op_sel_hi:[0,1,1] neg_lo:[0,0,1] neg_hi:[0,0,1]
	v_pk_add_f32 v[34:35], v[46:47], v[34:35]
	v_pk_mul_f32 v[46:47], v[14:15], s[34:35] op_sel:[1,0]
	s_mov_b32 s29, 0x3f763a35
	v_add_f32_e32 v41, v50, v41
	v_add_f32_e32 v66, v51, v66
	v_pk_fma_f32 v[50:51], v[12:13], s[4:5], v[46:47] op_sel:[1,0,0]
	v_pk_fma_f32 v[46:47], v[12:13], s[4:5], v[46:47] op_sel:[1,0,0] neg_lo:[0,0,1] neg_hi:[0,0,1]
	s_mov_b32 s28, s25
	v_pk_add_f32 v[34:35], v[46:47], v[34:35]
	s_mov_b32 s34, s7
	s_mov_b32 s35, s4
	v_pk_mul_f32 v[46:47], v[14:15], s[28:29] op_sel_hi:[0,1]
	v_add_f32_e32 v41, v50, v41
	v_add_f32_e32 v66, v51, v66
	v_pk_fma_f32 v[50:51], v[12:13], s[34:35], v[46:47] op_sel_hi:[0,1,1]
	v_pk_fma_f32 v[46:47], v[12:13], s[34:35], v[46:47] op_sel_hi:[0,1,1] neg_lo:[0,0,1] neg_hi:[0,0,1]
	s_mov_b32 s22, s24
	v_add_f32_e32 v3, v3, v57
	v_pk_add_f32 v[34:35], v[46:47], v[34:35]
	s_mov_b32 s16, s6
	v_pk_mul_f32 v[46:47], v[44:45], s[22:23] op_sel:[1,0]
	s_mov_b32 s10, s25
	v_add_f32_e32 v3, v3, v56
	v_add_f32_e32 v67, v50, v41
	;; [unrolled: 1-line block ×3, first 2 shown]
	v_pk_fma_f32 v[50:51], v[48:49], s[16:17], v[46:47] op_sel:[1,0,0]
	v_pk_fma_f32 v[46:47], v[48:49], s[16:17], v[46:47] op_sel:[1,0,0] neg_lo:[0,0,1] neg_hi:[0,0,1]
	s_mov_b32 s14, s7
	v_pk_mul_f32 v[44:45], v[44:45], s[10:11] op_sel_hi:[0,1]
	v_add_f32_e32 v3, v3, v52
	v_add_f32_e32 v50, v40, v50
	;; [unrolled: 1-line block ×3, first 2 shown]
	v_pk_add_f32 v[40:41], v[40:41], v[46:47] op_sel_hi:[0,1]
	v_pk_fma_f32 v[46:47], v[48:49], s[14:15], v[44:45] op_sel_hi:[0,1,1]
	v_pk_fma_f32 v[44:45], v[48:49], s[14:15], v[44:45] op_sel_hi:[0,1,1] neg_lo:[0,0,1] neg_hi:[0,0,1]
	s_mov_b32 s28, 0x3e3c28d5
	v_add_f32_e32 v3, v3, v53
	s_mov_b32 s21, 0x3eb8f4ab
	v_pk_add_f32 v[40:41], v[44:45], v[40:41]
	s_mov_b32 s34, s15
	v_pk_mul_f32 v[44:45], v[18:19], s[28:29] op_sel:[1,0]
	s_mov_b32 s20, s29
	v_add_f32_e32 v3, v3, v8
	s_mov_b32 s8, 0xbf06c442
	s_mov_b32 s18, 0x3f2c7751
	v_add_f32_e32 v50, v46, v50
	v_add_f32_e32 v51, v47, v51
	v_pk_fma_f32 v[46:47], v[38:39], s[34:35], v[44:45] op_sel:[1,0,0]
	v_pk_fma_f32 v[44:45], v[38:39], s[34:35], v[44:45] op_sel:[1,0,0] neg_lo:[0,0,1] neg_hi:[0,0,1]
	s_mov_b32 s34, s4
	s_mov_b32 s35, s12
	v_pk_mul_f32 v[18:19], v[18:19], s[20:21] op_sel_hi:[0,1]
	s_mov_b32 s19, s24
	v_add_f32_e32 v3, v3, v9
	v_add_f32_e32 v46, v46, v50
	v_pk_add_f32 v[40:41], v[44:45], v[40:41]
	v_pk_fma_f32 v[44:45], v[38:39], s[34:35], v[18:19] op_sel_hi:[0,1,1]
	v_pk_fma_f32 v[18:19], v[38:39], s[34:35], v[18:19] op_sel_hi:[0,1,1] neg_lo:[0,0,1] neg_hi:[0,0,1]
	s_mov_b32 s28, s13
	s_mov_b32 s29, s6
	v_pk_mul_f32 v[38:39], v[14:15], s[18:19] op_sel:[1,0]
	s_mov_b32 s31, s8
	v_add_f32_e32 v3, v3, v16
	v_add_f32_e32 v44, v44, v46
	v_pk_add_f32 v[18:19], v[18:19], v[40:41]
	v_pk_fma_f32 v[40:41], v[12:13], s[28:29], v[38:39] op_sel:[1,0,0]
	v_pk_fma_f32 v[38:39], v[12:13], s[28:29], v[38:39] op_sel:[1,0,0] neg_lo:[0,0,1] neg_hi:[0,0,1]
	s_mov_b32 s24, s12
	s_mov_b32 s25, s5
	v_pk_mul_f32 v[14:15], v[14:15], s[30:31] op_sel_hi:[0,1]
	v_add_f32_e32 v3, v3, v17
	v_add_f32_e32 v40, v40, v44
	v_pk_add_f32 v[18:19], v[38:39], v[18:19]
	v_pk_fma_f32 v[38:39], v[12:13], s[24:25], v[14:15] op_sel_hi:[0,1,1]
	v_add_f32_e32 v3, v3, v42
	v_pk_add_f32 v[16:17], v[36:37], v[58:59] neg_lo:[0,1] neg_hi:[0,1]
	v_add_f32_e32 v38, v38, v40
	v_pk_fma_f32 v[12:13], v[12:13], s[24:25], v[14:15] op_sel_hi:[0,1,1] neg_lo:[0,0,1] neg_hi:[0,0,1]
	v_add_f32_e32 v40, v3, v43
	v_pk_add_f32 v[14:15], v[56:57], v[52:53]
	v_mul_f32_e32 v3, 0xbeb8f4ab, v17
	v_add_f32_e32 v47, v47, v51
	v_fmamk_f32 v8, v15, 0x3f6eb680, v3
	v_add_f32_e32 v45, v45, v47
	v_add_f32_e32 v36, v8, v60
	v_mul_f32_e32 v8, 0xbe3c28d5, v17
	v_add_f32_e32 v41, v41, v45
	v_fmamk_f32 v9, v15, 0xbf7ba420, v8
	v_fma_f32 v8, v15, s15, -v8
	v_add_f32_e32 v39, v39, v41
	v_add_f32_e32 v41, v8, v62
	v_mul_f32_e32 v8, 0x3f2c7751, v17
	v_add_f32_e32 v37, v9, v61
	v_fmamk_f32 v9, v15, 0x3f3d2fb0, v8
	v_fma_f32 v8, v15, s13, -v8
	v_add_f32_e32 v43, v8, v64
	v_mul_f32_e32 v8, 0xbf763a35, v17
	s_mov_b32 s9, 0x3f65296c
	v_add_f32_e32 v42, v9, v63
	v_fmamk_f32 v9, v15, 0xbe8c1d8e, v8
	v_fma_f32 v8, v15, s4, -v8
	v_add_f32_e32 v44, v9, v54
	v_add_f32_e32 v45, v8, v65
	s_mov_b32 s24, s5
	s_mov_b32 s25, s6
	v_pk_mul_f32 v[8:9], v[16:17], s[8:9] op_sel:[1,0]
	v_pk_add_f32 v[12:13], v[12:13], v[18:19]
	v_pk_fma_f32 v[18:19], v[14:15], s[24:25], v[8:9] op_sel:[1,0,0]
	s_mov_b32 s20, s11
	v_add_f32_e32 v46, v18, v67
	v_add_f32_e32 v47, v19, v66
	v_pk_fma_f32 v[8:9], v[14:15], s[24:25], v[8:9] op_sel:[1,0,0] neg_lo:[0,0,1] neg_hi:[0,0,1]
	s_mov_b32 s14, s15
	s_mov_b32 s15, s12
	v_pk_mul_f32 v[18:19], v[16:17], s[20:21] op_sel_hi:[0,1]
	s_mov_b32 s27, 0x3f4c4adb
	v_pk_add_f32 v[8:9], v[8:9], v[34:35]
	v_pk_fma_f32 v[34:35], v[14:15], s[14:15], v[18:19] op_sel_hi:[0,1,1]
	v_pk_fma_f32 v[18:19], v[14:15], s[14:15], v[18:19] op_sel_hi:[0,1,1] neg_lo:[0,0,1] neg_hi:[0,0,1]
	s_mov_b32 s26, s23
	v_pk_add_f32 v[8:9], v[18:19], v[8:9]
	s_mov_b32 s10, s17
	s_mov_b32 s11, s7
	v_pk_mul_f32 v[18:19], v[16:17], s[26:27] op_sel:[1,0]
	v_add_f32_e32 v46, v34, v46
	v_add_f32_e32 v47, v35, v47
	v_pk_fma_f32 v[34:35], v[14:15], s[10:11], v[18:19] op_sel:[1,0,0]
	v_pk_fma_f32 v[18:19], v[14:15], s[10:11], v[18:19] op_sel:[1,0,0] neg_lo:[0,0,1] neg_hi:[0,0,1]
	s_mov_b32 s9, s18
	v_fma_f32 v3, v15, s12, -v3
	v_pk_add_f32 v[12:13], v[18:19], v[12:13]
	s_mov_b32 s12, s5
	v_pk_mul_f32 v[18:19], v[16:17], s[8:9] op_sel_hi:[0,1]
	v_add_f32_e32 v38, v34, v38
	v_add_f32_e32 v39, v35, v39
	v_pk_fma_f32 v[34:35], v[14:15], s[12:13], v[18:19] op_sel_hi:[0,1,1]
	v_pk_fma_f32 v[18:19], v[14:15], s[12:13], v[18:19] op_sel_hi:[0,1,1] neg_lo:[0,0,1] neg_hi:[0,0,1]
	v_pk_add_f32 v[12:13], v[18:19], v[12:13]
	v_mul_f32_e32 v18, 0xbf4c4adb, v16
	v_add_f32_e32 v3, v3, v55
	v_fmamk_f32 v19, v14, 0xbf1a4643, v18
	v_fma_f32 v18, v14, s7, -v18
	v_add_f32_e32 v3, v18, v3
	v_mul_f32_e32 v18, 0x3f65296c, v16
	v_add_f32_e32 v17, v34, v38
	v_add_f32_e32 v15, v35, v39
	v_fmamk_f32 v34, v14, 0x3ee437d1, v18
	v_mul_f32_e32 v35, 0xbf763a35, v16
	v_mul_f32_e32 v16, 0x3f7ee86f, v16
	v_add_f32_e32 v19, v19, v36
	v_add_f32_e32 v34, v34, v37
	v_fma_f32 v18, v14, s6, -v18
	v_fmamk_f32 v36, v14, 0xbe8c1d8e, v35
	v_fma_f32 v35, v14, s4, -v35
	v_fmamk_f32 v37, v14, 0x3dbcf732, v16
	v_fma_f32 v14, v14, s17, -v16
	v_add_f32_e32 v18, v18, v41
	v_add_f32_e32 v36, v36, v42
	;; [unrolled: 1-line block ×5, first 2 shown]
	s_waitcnt lgkmcnt(0)
	s_barrier
	ds_write2_b32 v7, v40, v46 offset1:17
	ds_write2_b32 v7, v47, v17 offset0:34 offset1:51
	ds_write2_b32 v7, v15, v19 offset0:68 offset1:85
	;; [unrolled: 1-line block ×7, first 2 shown]
	ds_write_b32 v7, v8 offset:1088
	v_add_u32_e32 v7, 0x400, v114
	s_waitcnt lgkmcnt(0)
	s_barrier
	ds_read2_b32 v[34:35], v7 offset0:33 offset1:135
	v_add_u32_e32 v7, 0x800, v114
	ds_read2_b32 v[40:41], v7 offset0:66 offset1:168
	v_add_u32_e32 v7, 0xc00, v114
	;; [unrolled: 2-line block ×4, first 2 shown]
	ds_read2_b32 v[18:19], v114 offset1:102
	ds_read2_b32 v[38:39], v7 offset0:37 offset1:139
	s_and_saveexec_b64 s[4:5], s[2:3]
	s_xor_b64 s[2:3], exec, s[4:5]
; %bb.16:
                                        ; implicit-def: $vgpr114
; %bb.17:
	s_or_saveexec_b64 s[2:3], s[2:3]
                                        ; implicit-def: $vgpr14
	s_xor_b64 exec, exec, s[2:3]
	s_cbranch_execz .LBB0_19
; %bb.18:
	ds_read_b32 v3, v114 offset:816
	ds_read_b32 v13, v114 offset:1972
	;; [unrolled: 1-line block ×6, first 2 shown]
.LBB0_19:
	s_or_b64 exec, exec, s[2:3]
	v_readlane_b32 s4, v155, 4
	v_readlane_b32 s5, v155, 5
	s_and_saveexec_b64 s[2:3], s[4:5]
	s_cbranch_execz .LBB0_22
; %bb.20:
	v_mul_u32_u24_e32 v7, 5, v146
	v_lshlrev_b32_e32 v7, 3, v7
	global_load_dwordx4 v[44:47], v7, s[52:53] offset:2176
	global_load_dwordx4 v[48:51], v7, s[52:53] offset:2192
	global_load_dwordx2 v[60:61], v7, s[52:53] offset:2208
	v_add_u32_e32 v7, 0x66, v146
	v_mul_lo_u32 v15, vcc_hi, v22
	v_mul_lo_u32 v16, vcc_lo, v23
	v_mad_u64_u32 v[22:23], s[2:3], vcc_lo, v22, 0
	v_readlane_b32 s8, v155, 0
	v_add3_u32 v23, v23, v16, v15
	v_mul_u32_u24_e32 v7, 5, v7
	v_readlane_b32 s10, v155, 2
	v_readlane_b32 s11, v155, 3
	v_lshlrev_b32_e32 v7, 3, v7
	s_mov_b32 s5, 0xe2c4a689
	v_lshl_add_u64 v[22:23], v[22:23], 3, s[10:11]
	v_lshl_add_u64 v[20:21], v[20:21], 3, v[22:23]
	global_load_dwordx2 v[22:23], v7, s[52:53] offset:2208
	global_load_dwordx4 v[52:55], v7, s[52:53] offset:2192
	global_load_dwordx4 v[56:59], v7, s[52:53] offset:2176
	v_mov_b32_e32 v62, v10
	v_mul_hi_u32 v10, v146, s5
	v_lshrrev_b32_e32 v10, 8, v10
	v_mul_u32_u24_e32 v10, 0x121, v10
	v_sub_u32_e32 v7, v146, v10
	v_mov_b32_e32 v17, 0
	s_waitcnt lgkmcnt(1)
	v_mov_b32_e32 v63, v18
	s_mov_b32 s2, 0x3f5db3d7
	v_lshlrev_b32_e32 v16, 3, v7
	s_mov_b32 s3, 0xbf5db3d7
	s_movk_i32 s6, 0x1000
	v_lshl_add_u64 v[64:65], v[20:21], 0, v[16:17]
	v_add_co_u32_e32 v66, vcc, s6, v64
	s_movk_i32 s7, 0x2000
	s_nop 0
	v_addc_co_u32_e32 v67, vcc, 0, v65, vcc
	v_mov_b32_e32 v18, v11
	s_movk_i32 s4, 0x121
	v_readlane_b32 s9, v155, 1
	s_waitcnt vmcnt(5)
	v_pk_mul_f32 v[68:69], v[40:41], v[46:47] op_sel_hi:[0,1]
	s_waitcnt vmcnt(4)
	v_pk_mul_f32 v[70:71], v[42:43], v[50:51] op_sel_hi:[0,1]
	v_pk_mul_f32 v[72:73], v[36:37], v[48:49] op_sel_hi:[0,1]
	s_waitcnt vmcnt(3) lgkmcnt(0)
	v_pk_mul_f32 v[74:75], v[38:39], v[60:61] op_sel_hi:[0,1]
	v_pk_mul_f32 v[76:77], v[34:35], v[44:45] op_sel_hi:[0,1]
	v_pk_fma_f32 v[78:79], v[32:33], v[46:47], v[68:69] op_sel:[0,0,1] op_sel_hi:[1,1,0] neg_lo:[0,0,1] neg_hi:[0,0,1]
	v_pk_fma_f32 v[46:47], v[32:33], v[46:47], v[68:69] op_sel:[0,0,1] op_sel_hi:[0,1,0]
	v_pk_fma_f32 v[68:69], v[30:31], v[50:51], v[70:71] op_sel:[0,0,1] op_sel_hi:[1,1,0] neg_lo:[0,0,1] neg_hi:[0,0,1]
	v_pk_fma_f32 v[50:51], v[30:31], v[50:51], v[70:71] op_sel:[0,0,1] op_sel_hi:[0,1,0]
	;; [unrolled: 2-line block ×5, first 2 shown]
	v_mov_b32_e32 v71, v49
	v_mov_b32_e32 v73, v61
	;; [unrolled: 1-line block ×5, first 2 shown]
	v_pk_add_f32 v[50:51], v[70:71], v[72:73]
	v_pk_add_f32 v[44:45], v[62:63], v[78:79]
	;; [unrolled: 1-line block ×3, first 2 shown]
	v_pk_add_f32 v[48:49], v[70:71], v[72:73] neg_lo:[0,1] neg_hi:[0,1]
	v_pk_add_f32 v[60:61], v[78:79], v[68:69]
	v_pk_add_f32 v[70:71], v[78:79], v[68:69] neg_lo:[0,1] neg_hi:[0,1]
	v_pk_fma_f32 v[50:51], v[50:51], 0.5, v[74:75] op_sel_hi:[1,0,1] neg_lo:[1,0,0] neg_hi:[1,0,0]
	v_pk_add_f32 v[44:45], v[44:45], v[68:69]
	v_pk_add_f32 v[46:47], v[46:47], v[72:73]
	v_pk_fma_f32 v[60:61], v[60:61], 0.5, v[62:63] op_sel_hi:[1,0,1] neg_lo:[1,0,0] neg_hi:[1,0,0]
	v_pk_mul_f32 v[62:63], v[70:71], s[2:3] op_sel_hi:[1,0]
	v_pk_fma_f32 v[70:71], v[48:49], s[2:3], v[50:51] op_sel:[0,0,1] op_sel_hi:[1,0,0]
	v_pk_fma_f32 v[48:49], v[48:49], s[2:3], v[50:51] op_sel:[0,0,1] op_sel_hi:[1,0,0] neg_lo:[1,0,0] neg_hi:[1,0,0]
	v_pk_add_f32 v[68:69], v[44:45], v[46:47]
	v_pk_add_f32 v[44:45], v[44:45], v[46:47] neg_lo:[0,1] neg_hi:[0,1]
	v_mov_b32_e32 v46, v70
	v_mov_b32_e32 v47, v49
	v_mul_f32_e32 v7, 0xbf5db3d7, v71
	v_pk_add_f32 v[50:51], v[60:61], v[62:63] op_sel:[0,1] op_sel_hi:[1,0] neg_lo:[0,1] neg_hi:[0,1]
	v_mul_f32_e32 v10, 0x3f5db3d7, v48
	global_store_dwordx2 v[66:67], v[44:45], off offset:2840
	v_pk_mul_f32 v[44:45], v[46:47], 0.5 op_sel_hi:[1,0]
	v_fmac_f32_e32 v7, 0.5, v48
	v_pk_add_f32 v[60:61], v[60:61], v[62:63] op_sel:[0,1] op_sel_hi:[1,0]
	v_fmac_f32_e32 v10, 0.5, v71
	v_pk_fma_f32 v[44:45], v[46:47], s[2:3], v[44:45] op_sel:[0,0,1] op_sel_hi:[1,1,0] neg_lo:[0,0,1] neg_hi:[0,0,1]
	v_sub_f32_e32 v47, v51, v7
	v_add_f32_e32 v49, v51, v7
	v_add_u32_e32 v7, 0x66, v146
	v_sub_f32_e32 v46, v60, v10
	v_add_f32_e32 v48, v60, v10
	v_mul_hi_u32 v10, v7, s5
	v_lshrrev_b32_e32 v10, 8, v10
	v_mov_b32_e32 v62, v50
	v_mov_b32_e32 v63, v61
	v_mul_u32_u24_e32 v15, 0x121, v10
	global_store_dwordx2 v[64:65], v[68:69], off
	v_pk_add_f32 v[50:51], v[62:63], v[44:45]
	global_store_dwordx2 v[64:65], v[48:49], off offset:2312
	global_store_dwordx2 v[66:67], v[50:51], off offset:528
	v_add_co_u32_e32 v48, vcc, s7, v64
	v_sub_u32_e32 v7, v7, v15
	s_movk_i32 s5, 0x6c6
	v_addc_co_u32_e32 v49, vcc, 0, v65, vcc
	v_pk_add_f32 v[44:45], v[62:63], v[44:45] neg_lo:[0,1] neg_hi:[0,1]
	v_mad_u32_u24 v16, v10, s5, v7
	global_store_dwordx2 v[48:49], v[46:47], off offset:1056
	global_store_dwordx2 v[48:49], v[44:45], off offset:3368
	v_lshl_add_u64 v[44:45], v[16:17], 3, v[20:21]
	v_add_u32_e32 v46, 0x121, v16
	v_add_u32_e32 v48, 0x242, v16
	;; [unrolled: 1-line block ×5, first 2 shown]
	v_mov_b32_e32 v10, v41
	v_lshl_add_u64 v[62:63], v[16:17], 3, v[20:21]
	s_waitcnt vmcnt(6)
	v_pk_mul_f32 v[40:41], v[10:11], v[58:59] op_sel_hi:[0,1]
	v_mov_b32_e32 v10, v33
	v_mov_b32_e32 v16, v33
	v_pk_fma_f32 v[32:33], v[10:11], v[58:59], v[40:41] op_sel:[0,0,1] op_sel_hi:[1,1,0] neg_lo:[0,0,1] neg_hi:[0,0,1]
	v_pk_fma_f32 v[40:41], v[16:17], v[58:59], v[40:41] op_sel:[0,0,1] op_sel_hi:[0,1,0]
	v_mov_b32_e32 v10, v43
	v_mov_b32_e32 v33, v41
	v_pk_mul_f32 v[40:41], v[10:11], v[54:55] op_sel_hi:[0,1]
	v_mov_b32_e32 v10, v31
	v_mov_b32_e32 v16, v31
	v_pk_fma_f32 v[30:31], v[10:11], v[54:55], v[40:41] op_sel:[0,0,1] op_sel_hi:[1,1,0] neg_lo:[0,0,1] neg_hi:[0,0,1]
	v_pk_fma_f32 v[40:41], v[16:17], v[54:55], v[40:41] op_sel:[0,0,1] op_sel_hi:[0,1,0]
	v_mov_b32_e32 v16, v27
	v_mov_b32_e32 v10, v37
	v_pk_mul_f32 v[26:27], v[16:17], v[52:53] op_sel_hi:[0,1]
	v_mov_b32_e32 v31, v41
	v_pk_fma_f32 v[40:41], v[10:11], v[52:53], v[26:27] op_sel:[0,0,1] op_sel_hi:[1,1,0]
	v_pk_fma_f32 v[26:27], v[10:11], v[52:53], v[26:27] op_sel:[0,0,1] op_sel_hi:[0,1,0] neg_lo:[1,0,0] neg_hi:[1,0,0]
	v_mov_b32_e32 v16, v29
	v_mov_b32_e32 v41, v27
	;; [unrolled: 1-line block ×3, first 2 shown]
	v_pk_mul_f32 v[26:27], v[16:17], v[22:23] op_sel_hi:[0,1]
	v_mov_b32_e32 v16, v25
	v_pk_fma_f32 v[28:29], v[10:11], v[22:23], v[26:27] op_sel:[0,0,1] op_sel_hi:[1,1,0]
	v_pk_fma_f32 v[22:23], v[10:11], v[22:23], v[26:27] op_sel:[0,0,1] op_sel_hi:[0,1,0] neg_lo:[1,0,0] neg_hi:[1,0,0]
	v_mov_b32_e32 v10, v35
	v_pk_mul_f32 v[24:25], v[16:17], v[56:57] op_sel_hi:[0,1]
	v_mov_b32_e32 v29, v23
	v_pk_fma_f32 v[26:27], v[10:11], v[56:57], v[24:25] op_sel:[0,0,1] op_sel_hi:[1,1,0]
	v_pk_fma_f32 v[24:25], v[10:11], v[56:57], v[24:25] op_sel:[0,0,1] op_sel_hi:[0,1,0] neg_lo:[1,0,0] neg_hi:[1,0,0]
	v_pk_add_f32 v[22:23], v[40:41], v[28:29] neg_lo:[0,1] neg_hi:[0,1]
	v_mov_b32_e32 v27, v25
	v_pk_add_f32 v[24:25], v[40:41], v[28:29]
	v_pk_mul_f32 v[22:23], v[22:23], s[2:3] op_sel_hi:[1,0]
	v_pk_fma_f32 v[24:25], v[24:25], 0.5, v[26:27] op_sel_hi:[1,0,1] neg_lo:[1,0,0] neg_hi:[1,0,0]
	v_pk_add_f32 v[36:37], v[32:33], v[30:31]
	v_pk_add_f32 v[34:35], v[24:25], v[22:23] op_sel:[0,1] op_sel_hi:[1,0]
	v_pk_add_f32 v[22:23], v[24:25], v[22:23] op_sel:[0,1] op_sel_hi:[1,0] neg_lo:[0,1] neg_hi:[0,1]
	v_pk_fma_f32 v[10:11], v[36:37], 0.5, v[18:19] op_sel_hi:[1,0,1] neg_lo:[1,0,0] neg_hi:[1,0,0]
	v_pk_add_f32 v[36:37], v[32:33], v[30:31] neg_lo:[0,1] neg_hi:[0,1]
	v_mov_b32_e32 v24, v34
	v_mov_b32_e32 v25, v23
	v_pk_mul_f32 v[36:37], v[36:37], s[2:3] op_sel_hi:[1,0]
	v_mul_f32_e32 v7, 0xbf5db3d7, v35
	v_mul_f32_e32 v15, 0x3f5db3d7, v22
	v_mov_b32_e32 v47, v17
	v_pk_add_f32 v[38:39], v[10:11], v[36:37] op_sel:[0,1] op_sel_hi:[1,0] neg_lo:[0,1] neg_hi:[0,1]
	v_fmac_f32_e32 v7, 0.5, v22
	v_pk_add_f32 v[10:11], v[10:11], v[36:37] op_sel:[0,1] op_sel_hi:[1,0]
	v_pk_mul_f32 v[42:43], v[24:25], 0.5 op_sel_hi:[1,0]
	v_fmac_f32_e32 v15, 0.5, v35
	v_lshl_add_u64 v[46:47], v[46:47], 3, v[20:21]
	v_mov_b32_e32 v49, v17
	v_mov_b32_e32 v36, v38
	;; [unrolled: 1-line block ×3, first 2 shown]
	v_pk_fma_f32 v[24:25], v[24:25], s[2:3], v[42:43] op_sel:[0,0,1] op_sel_hi:[1,1,0] neg_lo:[0,0,1] neg_hi:[0,0,1]
	v_sub_f32_e32 v22, v10, v15
	v_add_f32_e32 v11, v39, v7
	v_add_f32_e32 v10, v10, v15
	v_lshl_add_u64 v[48:49], v[48:49], 3, v[20:21]
	global_store_dwordx2 v[46:47], v[10:11], off
	v_pk_add_f32 v[10:11], v[36:37], v[24:25]
	global_store_dwordx2 v[48:49], v[10:11], off
	v_pk_add_f32 v[10:11], v[18:19], v[32:33]
	v_pk_add_f32 v[18:19], v[26:27], v[40:41]
	;; [unrolled: 1-line block ×4, first 2 shown]
	v_mov_b32_e32 v51, v17
	v_mov_b32_e32 v61, v17
	v_pk_add_f32 v[42:43], v[36:37], v[24:25] neg_lo:[0,1] neg_hi:[0,1]
	v_pk_add_f32 v[24:25], v[10:11], v[18:19] op_sel:[0,1] op_sel_hi:[1,0] neg_lo:[0,1] neg_hi:[0,1]
	v_pk_add_f32 v[10:11], v[10:11], v[18:19] op_sel:[0,1] op_sel_hi:[1,0]
	v_lshl_add_u64 v[50:51], v[50:51], 3, v[20:21]
	v_lshl_add_u64 v[60:61], v[60:61], 3, v[20:21]
	v_sub_f32_e32 v23, v39, v7
	global_store_dwordx2 v[44:45], v[10:11], off
	global_store_dwordx2 v[50:51], v[24:25], off
	;; [unrolled: 1-line block ×4, first 2 shown]
	v_add_u32_e32 v10, 0xcc, v146
	v_cmp_gt_u32_e32 vcc, s4, v10
	s_and_b64 exec, exec, vcc
	s_cbranch_execz .LBB0_22
; %bb.21:
	v_mov_b32_e32 v7, 0xffffffab
	v_mov_b32_e32 v11, 0xcc
	v_cndmask_b32_e64 v7, v7, v11, s[0:1]
	v_add_u32_e32 v7, v146, v7
	v_mul_i32_i24_e32 v16, 5, v7
	v_lshl_add_u64 v[18:19], v[16:17], 3, s[52:53]
	global_load_dwordx4 v[22:25], v[18:19], off offset:2176
	global_load_dwordx4 v[26:29], v[18:19], off offset:2192
	global_load_dwordx2 v[30:31], v[18:19], off offset:2208
	v_add_u32_e32 v16, 0x1ed, v146
	v_lshl_add_u64 v[18:19], v[16:17], 3, v[20:21]
	v_add_u32_e32 v16, 0x30e, v146
	v_lshl_add_u64 v[32:33], v[16:17], 3, v[20:21]
	;; [unrolled: 2-line block ×3, first 2 shown]
	v_add_u32_e32 v16, 0x550, v146
	v_mov_b32_e32 v11, v17
	v_lshl_add_u64 v[36:37], v[16:17], 3, v[20:21]
	v_add_u32_e32 v16, 0x671, v146
	v_lshl_add_u64 v[10:11], v[10:11], 3, v[20:21]
	v_lshl_add_u64 v[16:17], v[16:17], 3, v[20:21]
	s_waitcnt vmcnt(2)
	v_pk_mul_f32 v[20:21], v[4:5], v[22:23] op_sel:[1,0]
	v_pk_mul_f32 v[38:39], v[12:13], v[24:25] op_sel_hi:[0,1]
	s_waitcnt vmcnt(1)
	v_pk_mul_f32 v[40:41], v[0:1], v[26:27] op_sel:[1,0]
	v_pk_mul_f32 v[42:43], v[8:9], v[28:29] op_sel_hi:[0,1]
	s_waitcnt vmcnt(0)
	v_pk_mul_f32 v[6:7], v[6:7], v[30:31] op_sel_hi:[0,1]
	v_pk_fma_f32 v[44:45], v[12:13], v[22:23], v[20:21] op_sel:[1,0,1] op_sel_hi:[1,1,0]
	v_pk_fma_f32 v[12:13], v[12:13], v[22:23], v[20:21] op_sel:[1,0,1] op_sel_hi:[1,1,0] neg_lo:[1,0,0] neg_hi:[1,0,0]
	v_pk_fma_f32 v[20:21], v[4:5], v[24:25], v[38:39] op_sel:[0,0,1] op_sel_hi:[1,1,0] neg_lo:[0,0,1] neg_hi:[0,0,1]
	v_pk_fma_f32 v[4:5], v[4:5], v[24:25], v[38:39] op_sel:[0,0,1] op_sel_hi:[0,1,0]
	v_pk_fma_f32 v[22:23], v[8:9], v[26:27], v[40:41] op_sel:[1,0,1] op_sel_hi:[1,1,0]
	v_pk_fma_f32 v[8:9], v[8:9], v[26:27], v[40:41] op_sel:[1,0,1] op_sel_hi:[1,1,0] neg_lo:[1,0,0] neg_hi:[1,0,0]
	v_pk_fma_f32 v[24:25], v[0:1], v[28:29], v[42:43] op_sel:[0,0,1] op_sel_hi:[1,1,0] neg_lo:[0,0,1] neg_hi:[0,0,1]
	v_pk_fma_f32 v[0:1], v[0:1], v[28:29], v[42:43] op_sel:[0,0,1] op_sel_hi:[0,1,0]
	v_pk_fma_f32 v[26:27], v[14:15], v[30:31], v[6:7] op_sel:[0,0,1] op_sel_hi:[1,1,0]
	v_pk_fma_f32 v[6:7], v[14:15], v[30:31], v[6:7] op_sel:[0,0,1] op_sel_hi:[0,1,0] neg_lo:[1,0,0] neg_hi:[1,0,0]
	v_mov_b32_e32 v21, v5
	v_mov_b32_e32 v23, v9
	;; [unrolled: 1-line block ×5, first 2 shown]
	v_pk_add_f32 v[0:1], v[20:21], v[24:25]
	v_pk_add_f32 v[4:5], v[20:21], v[24:25] neg_lo:[0,1] neg_hi:[0,1]
	v_pk_add_f32 v[6:7], v[22:23], v[26:27]
	v_pk_add_f32 v[8:9], v[22:23], v[26:27] neg_lo:[0,1] neg_hi:[0,1]
	v_pk_add_f32 v[12:13], v[2:3], v[20:21]
	v_pk_add_f32 v[14:15], v[44:45], v[22:23]
	v_pk_fma_f32 v[0:1], v[0:1], 0.5, v[2:3] op_sel_hi:[1,0,1] neg_lo:[1,0,0] neg_hi:[1,0,0]
	v_pk_mul_f32 v[2:3], v[4:5], s[2:3] op_sel_hi:[1,0]
	v_pk_fma_f32 v[4:5], v[6:7], 0.5, v[44:45] op_sel_hi:[1,0,1] neg_lo:[1,0,0] neg_hi:[1,0,0]
	v_pk_mul_f32 v[6:7], v[8:9], s[2:3] op_sel_hi:[1,0]
	v_pk_add_f32 v[8:9], v[12:13], v[24:25]
	v_pk_add_f32 v[12:13], v[14:15], v[26:27]
	v_pk_add_f32 v[14:15], v[2:3], v[0:1] op_sel:[1,0] op_sel_hi:[0,1]
	v_pk_add_f32 v[0:1], v[0:1], v[2:3] op_sel:[0,1] op_sel_hi:[1,0] neg_lo:[0,1] neg_hi:[0,1]
	v_pk_add_f32 v[2:3], v[6:7], v[4:5] op_sel:[1,0] op_sel_hi:[0,1]
	v_pk_add_f32 v[4:5], v[4:5], v[6:7] op_sel:[0,1] op_sel_hi:[1,0] neg_lo:[0,1] neg_hi:[0,1]
	;; [unrolled: 2-line block ×3, first 2 shown]
	v_mov_b32_e32 v12, v0
	v_mov_b32_e32 v13, v15
	;; [unrolled: 1-line block ×4, first 2 shown]
	v_mul_f32_e32 v0, 0x3f5db3d7, v4
	v_mul_f32_e32 v15, 0xbf5db3d7, v3
	v_fmac_f32_e32 v0, 0.5, v3
	v_pk_mul_f32 v[2:3], v[20:21], 0.5 op_sel_hi:[1,0]
	v_fmac_f32_e32 v15, 0.5, v4
	v_add_f32_e32 v4, v14, v0
	v_pk_fma_f32 v[2:3], v[20:21], s[2:3], v[2:3] op_sel:[0,0,1] op_sel_hi:[1,1,0] neg_lo:[0,0,1] neg_hi:[0,0,1]
	v_add_f32_e32 v5, v1, v15
	global_store_dwordx2 v[10:11], v[6:7], off
	global_store_dwordx2 v[34:35], v[8:9], off
	v_sub_f32_e32 v0, v14, v0
	v_sub_f32_e32 v1, v1, v15
	v_pk_add_f32 v[6:7], v[12:13], v[2:3]
	v_pk_add_f32 v[2:3], v[12:13], v[2:3] neg_lo:[0,1] neg_hi:[0,1]
	global_store_dwordx2 v[18:19], v[4:5], off
	global_store_dwordx2 v[36:37], v[0:1], off
	;; [unrolled: 1-line block ×4, first 2 shown]
.LBB0_22:
	s_endpgm
	.section	.rodata,"a",@progbits
	.p2align	6, 0x0
	.amdhsa_kernel fft_rtc_fwd_len1734_factors_17_17_6_wgs_102_tpt_102_halfLds_sp_op_CI_CI_unitstride_sbrr_dirReg
		.amdhsa_group_segment_fixed_size 0
		.amdhsa_private_segment_fixed_size 0
		.amdhsa_kernarg_size 104
		.amdhsa_user_sgpr_count 2
		.amdhsa_user_sgpr_dispatch_ptr 0
		.amdhsa_user_sgpr_queue_ptr 0
		.amdhsa_user_sgpr_kernarg_segment_ptr 1
		.amdhsa_user_sgpr_dispatch_id 0
		.amdhsa_user_sgpr_kernarg_preload_length 0
		.amdhsa_user_sgpr_kernarg_preload_offset 0
		.amdhsa_user_sgpr_private_segment_size 0
		.amdhsa_uses_dynamic_stack 0
		.amdhsa_enable_private_segment 0
		.amdhsa_system_sgpr_workgroup_id_x 1
		.amdhsa_system_sgpr_workgroup_id_y 0
		.amdhsa_system_sgpr_workgroup_id_z 0
		.amdhsa_system_sgpr_workgroup_info 0
		.amdhsa_system_vgpr_workitem_id 0
		.amdhsa_next_free_vgpr 188
		.amdhsa_next_free_sgpr 100
		.amdhsa_accum_offset 188
		.amdhsa_reserve_vcc 1
		.amdhsa_float_round_mode_32 0
		.amdhsa_float_round_mode_16_64 0
		.amdhsa_float_denorm_mode_32 3
		.amdhsa_float_denorm_mode_16_64 3
		.amdhsa_dx10_clamp 1
		.amdhsa_ieee_mode 1
		.amdhsa_fp16_overflow 0
		.amdhsa_tg_split 0
		.amdhsa_exception_fp_ieee_invalid_op 0
		.amdhsa_exception_fp_denorm_src 0
		.amdhsa_exception_fp_ieee_div_zero 0
		.amdhsa_exception_fp_ieee_overflow 0
		.amdhsa_exception_fp_ieee_underflow 0
		.amdhsa_exception_fp_ieee_inexact 0
		.amdhsa_exception_int_div_zero 0
	.end_amdhsa_kernel
	.text
.Lfunc_end0:
	.size	fft_rtc_fwd_len1734_factors_17_17_6_wgs_102_tpt_102_halfLds_sp_op_CI_CI_unitstride_sbrr_dirReg, .Lfunc_end0-fft_rtc_fwd_len1734_factors_17_17_6_wgs_102_tpt_102_halfLds_sp_op_CI_CI_unitstride_sbrr_dirReg
                                        ; -- End function
	.section	.AMDGPU.csdata,"",@progbits
; Kernel info:
; codeLenInByte = 13720
; NumSgprs: 106
; NumVgprs: 188
; NumAgprs: 0
; TotalNumVgprs: 188
; ScratchSize: 0
; MemoryBound: 0
; FloatMode: 240
; IeeeMode: 1
; LDSByteSize: 0 bytes/workgroup (compile time only)
; SGPRBlocks: 13
; VGPRBlocks: 23
; NumSGPRsForWavesPerEU: 106
; NumVGPRsForWavesPerEU: 188
; AccumOffset: 188
; Occupancy: 2
; WaveLimiterHint : 1
; COMPUTE_PGM_RSRC2:SCRATCH_EN: 0
; COMPUTE_PGM_RSRC2:USER_SGPR: 2
; COMPUTE_PGM_RSRC2:TRAP_HANDLER: 0
; COMPUTE_PGM_RSRC2:TGID_X_EN: 1
; COMPUTE_PGM_RSRC2:TGID_Y_EN: 0
; COMPUTE_PGM_RSRC2:TGID_Z_EN: 0
; COMPUTE_PGM_RSRC2:TIDIG_COMP_CNT: 0
; COMPUTE_PGM_RSRC3_GFX90A:ACCUM_OFFSET: 46
; COMPUTE_PGM_RSRC3_GFX90A:TG_SPLIT: 0
	.text
	.p2alignl 6, 3212836864
	.fill 256, 4, 3212836864
	.type	__hip_cuid_21072646e8f67c1b,@object ; @__hip_cuid_21072646e8f67c1b
	.section	.bss,"aw",@nobits
	.globl	__hip_cuid_21072646e8f67c1b
__hip_cuid_21072646e8f67c1b:
	.byte	0                               ; 0x0
	.size	__hip_cuid_21072646e8f67c1b, 1

	.ident	"AMD clang version 19.0.0git (https://github.com/RadeonOpenCompute/llvm-project roc-6.4.0 25133 c7fe45cf4b819c5991fe208aaa96edf142730f1d)"
	.section	".note.GNU-stack","",@progbits
	.addrsig
	.addrsig_sym __hip_cuid_21072646e8f67c1b
	.amdgpu_metadata
---
amdhsa.kernels:
  - .agpr_count:     0
    .args:
      - .actual_access:  read_only
        .address_space:  global
        .offset:         0
        .size:           8
        .value_kind:     global_buffer
      - .offset:         8
        .size:           8
        .value_kind:     by_value
      - .actual_access:  read_only
        .address_space:  global
        .offset:         16
        .size:           8
        .value_kind:     global_buffer
      - .actual_access:  read_only
        .address_space:  global
        .offset:         24
        .size:           8
        .value_kind:     global_buffer
      - .actual_access:  read_only
        .address_space:  global
        .offset:         32
        .size:           8
        .value_kind:     global_buffer
      - .offset:         40
        .size:           8
        .value_kind:     by_value
      - .actual_access:  read_only
        .address_space:  global
        .offset:         48
        .size:           8
        .value_kind:     global_buffer
      - .actual_access:  read_only
        .address_space:  global
        .offset:         56
        .size:           8
        .value_kind:     global_buffer
      - .offset:         64
        .size:           4
        .value_kind:     by_value
      - .actual_access:  read_only
        .address_space:  global
        .offset:         72
        .size:           8
        .value_kind:     global_buffer
      - .actual_access:  read_only
        .address_space:  global
        .offset:         80
        .size:           8
        .value_kind:     global_buffer
      - .actual_access:  read_only
        .address_space:  global
        .offset:         88
        .size:           8
        .value_kind:     global_buffer
      - .actual_access:  write_only
        .address_space:  global
        .offset:         96
        .size:           8
        .value_kind:     global_buffer
    .group_segment_fixed_size: 0
    .kernarg_segment_align: 8
    .kernarg_segment_size: 104
    .language:       OpenCL C
    .language_version:
      - 2
      - 0
    .max_flat_workgroup_size: 102
    .name:           fft_rtc_fwd_len1734_factors_17_17_6_wgs_102_tpt_102_halfLds_sp_op_CI_CI_unitstride_sbrr_dirReg
    .private_segment_fixed_size: 0
    .sgpr_count:     106
    .sgpr_spill_count: 22
    .symbol:         fft_rtc_fwd_len1734_factors_17_17_6_wgs_102_tpt_102_halfLds_sp_op_CI_CI_unitstride_sbrr_dirReg.kd
    .uniform_work_group_size: 1
    .uses_dynamic_stack: false
    .vgpr_count:     188
    .vgpr_spill_count: 0
    .wavefront_size: 64
amdhsa.target:   amdgcn-amd-amdhsa--gfx950
amdhsa.version:
  - 1
  - 2
...

	.end_amdgpu_metadata
